;; amdgpu-corpus repo=ROCm/rocFFT kind=compiled arch=gfx906 opt=O3
	.text
	.amdgcn_target "amdgcn-amd-amdhsa--gfx906"
	.amdhsa_code_object_version 6
	.protected	bluestein_single_fwd_len312_dim1_half_op_CI_CI ; -- Begin function bluestein_single_fwd_len312_dim1_half_op_CI_CI
	.globl	bluestein_single_fwd_len312_dim1_half_op_CI_CI
	.p2align	8
	.type	bluestein_single_fwd_len312_dim1_half_op_CI_CI,@function
bluestein_single_fwd_len312_dim1_half_op_CI_CI: ; @bluestein_single_fwd_len312_dim1_half_op_CI_CI
; %bb.0:
	s_load_dwordx4 s[0:3], s[4:5], 0x28
	v_mul_u32_u24_e32 v1, 0x9d9, v0
	v_lshrrev_b32_e32 v1, 16, v1
	v_lshl_add_u32 v9, s6, 1, v1
	v_mov_b32_e32 v10, 0
	s_waitcnt lgkmcnt(0)
	v_cmp_gt_u64_e32 vcc, s[0:1], v[9:10]
	s_and_saveexec_b64 s[0:1], vcc
	s_cbranch_execz .LBB0_15
; %bb.1:
	s_load_dwordx2 s[6:7], s[4:5], 0x0
	s_load_dwordx2 s[12:13], s[4:5], 0x38
	v_mul_lo_u16_e32 v2, 26, v1
	v_sub_u16_e32 v26, v0, v2
	v_and_b32_e32 v0, 1, v1
	v_mov_b32_e32 v1, 0x138
	v_cmp_eq_u32_e32 vcc, 1, v0
	v_cndmask_b32_e32 v28, 0, v1, vcc
	v_cmp_gt_u16_e32 vcc, 24, v26
	v_lshlrev_b32_e32 v27, 2, v26
	v_lshlrev_b32_e32 v29, 2, v28
	s_and_saveexec_b64 s[14:15], vcc
	s_cbranch_execz .LBB0_3
; %bb.2:
	s_load_dwordx2 s[0:1], s[4:5], 0x18
	v_or_b32_e32 v8, 0xc0, v26
	v_mov_b32_e32 v14, 0xc0
	v_or_b32_e32 v22, 0x120, v26
	s_waitcnt lgkmcnt(0)
	s_load_dwordx4 s[8:11], s[0:1], 0x0
	s_waitcnt lgkmcnt(0)
	v_mad_u64_u32 v[0:1], s[0:1], s10, v9, 0
	v_mad_u64_u32 v[2:3], s[0:1], s8, v26, 0
	s_mul_i32 s10, s8, 0x60
	v_mad_u64_u32 v[4:5], s[0:1], s11, v9, v[1:2]
	s_mul_i32 s11, s9, 0xc0
	v_mad_u64_u32 v[5:6], s[0:1], s9, v26, v[3:4]
	v_mov_b32_e32 v1, v4
	v_lshlrev_b64 v[0:1], 2, v[0:1]
	v_mov_b32_e32 v3, v5
	v_mov_b32_e32 v6, s3
	v_lshlrev_b64 v[2:3], 2, v[2:3]
	v_add_co_u32_e64 v10, s[0:1], s2, v0
	v_addc_co_u32_e64 v11, s[0:1], v6, v1, s[0:1]
	v_add_co_u32_e64 v0, s[0:1], v10, v2
	v_or_b32_e32 v6, 0x60, v26
	v_addc_co_u32_e64 v1, s[0:1], v11, v3, s[0:1]
	v_mad_u64_u32 v[2:3], s[0:1], s8, v6, 0
	v_mad_u64_u32 v[4:5], s[0:1], s8, v8, 0
	s_mul_i32 s2, s9, 0x60
	s_mul_hi_u32 s3, s8, 0x60
	v_mad_u64_u32 v[6:7], s[0:1], s9, v6, v[3:4]
	global_load_dword v12, v[0:1], off
	global_load_dword v13, v27, s[6:7]
	s_add_i32 s2, s3, s2
	v_mad_u64_u32 v[7:8], s[0:1], s9, v8, v[5:6]
	v_mov_b32_e32 v23, s2
	v_add_co_u32_e64 v0, s[0:1], s10, v0
	v_addc_co_u32_e64 v1, s[0:1], v1, v23, s[0:1]
	global_load_dword v15, v27, s[6:7] offset:96
	global_load_dword v16, v27, s[6:7] offset:192
	;; [unrolled: 1-line block ×7, first 2 shown]
	global_load_dword v8, v[0:1], off
	v_mov_b32_e32 v24, s2
	v_add_co_u32_e64 v0, s[0:1], s10, v0
	v_addc_co_u32_e64 v1, s[0:1], v1, v24, s[0:1]
	v_mov_b32_e32 v3, v6
	global_load_dword v6, v[0:1], off
	v_mov_b32_e32 v25, s2
	v_lshlrev_b64 v[2:3], 2, v[2:3]
	v_add_co_u32_e64 v0, s[0:1], s10, v0
	v_addc_co_u32_e64 v1, s[0:1], v1, v25, s[0:1]
	v_mov_b32_e32 v5, v7
	global_load_dword v7, v[0:1], off
	v_add_co_u32_e64 v2, s[0:1], v10, v2
	v_addc_co_u32_e64 v3, s[0:1], v11, v3, s[0:1]
	global_load_dword v23, v[2:3], off
	v_mad_u64_u32 v[0:1], s[0:1], s8, v14, v[0:1]
	v_lshlrev_b64 v[4:5], 2, v[4:5]
	v_mov_b32_e32 v30, s2
	v_add_co_u32_e64 v2, s[0:1], v10, v4
	v_add_u32_e32 v1, s11, v1
	v_addc_co_u32_e64 v3, s[0:1], v11, v5, s[0:1]
	global_load_dword v24, v[0:1], off
	global_load_dword v32, v[2:3], off
	v_add_co_u32_e64 v0, s[0:1], s10, v0
	v_addc_co_u32_e64 v1, s[0:1], v1, v30, s[0:1]
	global_load_dword v25, v[0:1], off
	v_mov_b32_e32 v31, s2
	v_add_co_u32_e64 v0, s[0:1], s10, v0
	v_addc_co_u32_e64 v1, s[0:1], v1, v31, s[0:1]
	global_load_dword v30, v[0:1], off
	v_mad_u64_u32 v[4:5], s[0:1], s8, v22, 0
	v_mad_u64_u32 v[0:1], s[0:1], s8, v14, v[0:1]
	global_load_dword v34, v27, s[6:7] offset:768
	v_mov_b32_e32 v2, v5
	v_mad_u64_u32 v[2:3], s[0:1], s9, v22, v[2:3]
	v_add_u32_e32 v1, s11, v1
	global_load_dword v22, v[0:1], off
	global_load_dword v35, v27, s[6:7] offset:864
	v_mov_b32_e32 v33, s2
	v_add_co_u32_e64 v0, s[0:1], s10, v0
	v_addc_co_u32_e64 v1, s[0:1], v1, v33, s[0:1]
	v_mov_b32_e32 v5, v2
	v_lshlrev_b64 v[2:3], 2, v[4:5]
	global_load_dword v4, v[0:1], off
	global_load_dword v5, v27, s[6:7] offset:960
	v_add_co_u32_e64 v0, s[0:1], s10, v0
	v_addc_co_u32_e64 v1, s[0:1], v1, v33, s[0:1]
	global_load_dword v33, v[0:1], off
	global_load_dword v36, v27, s[6:7] offset:1056
	v_add_co_u32_e64 v0, s[0:1], v10, v2
	v_addc_co_u32_e64 v1, s[0:1], v11, v3, s[0:1]
	global_load_dword v2, v[0:1], off
	global_load_dword v3, v27, s[6:7] offset:1152
	s_waitcnt vmcnt(25)
	v_lshrrev_b32_e32 v14, 16, v12
	s_waitcnt vmcnt(24)
	v_mul_f16_sdwa v31, v13, v12 dst_sel:DWORD dst_unused:UNUSED_PAD src0_sel:WORD_1 src1_sel:DWORD
	v_mul_f16_sdwa v0, v13, v14 dst_sel:DWORD dst_unused:UNUSED_PAD src0_sel:WORD_1 src1_sel:DWORD
	v_fma_f16 v1, v13, v14, -v31
	v_fma_f16 v0, v13, v12, v0
	v_lshl_add_u32 v10, v26, 2, v29
	v_pack_b32_f16 v0, v0, v1
	ds_write_b32 v10, v0
	v_add_u32_e32 v10, v29, v27
	s_waitcnt vmcnt(16)
	v_lshrrev_b32_e32 v0, 16, v8
	v_mul_f16_sdwa v1, v15, v0 dst_sel:DWORD dst_unused:UNUSED_PAD src0_sel:WORD_1 src1_sel:DWORD
	v_fma_f16 v1, v15, v8, v1
	v_mul_f16_sdwa v8, v15, v8 dst_sel:DWORD dst_unused:UNUSED_PAD src0_sel:WORD_1 src1_sel:DWORD
	v_fma_f16 v0, v15, v0, -v8
	v_pack_b32_f16 v0, v1, v0
	s_waitcnt vmcnt(15)
	v_lshrrev_b32_e32 v1, 16, v6
	v_mul_f16_sdwa v8, v16, v1 dst_sel:DWORD dst_unused:UNUSED_PAD src0_sel:WORD_1 src1_sel:DWORD
	v_fma_f16 v8, v16, v6, v8
	v_mul_f16_sdwa v6, v16, v6 dst_sel:DWORD dst_unused:UNUSED_PAD src0_sel:WORD_1 src1_sel:DWORD
	v_fma_f16 v1, v16, v1, -v6
	v_pack_b32_f16 v1, v8, v1
	ds_write2_b32 v10, v0, v1 offset0:24 offset1:48
	s_waitcnt vmcnt(14)
	v_lshrrev_b32_e32 v0, 16, v7
	v_mul_f16_sdwa v1, v17, v0 dst_sel:DWORD dst_unused:UNUSED_PAD src0_sel:WORD_1 src1_sel:DWORD
	v_mul_f16_sdwa v6, v17, v7 dst_sel:DWORD dst_unused:UNUSED_PAD src0_sel:WORD_1 src1_sel:DWORD
	v_fma_f16 v1, v17, v7, v1
	v_fma_f16 v0, v17, v0, -v6
	v_pack_b32_f16 v0, v1, v0
	s_waitcnt vmcnt(13)
	v_lshrrev_b32_e32 v1, 16, v23
	v_mul_f16_sdwa v6, v18, v1 dst_sel:DWORD dst_unused:UNUSED_PAD src0_sel:WORD_1 src1_sel:DWORD
	v_mul_f16_sdwa v7, v18, v23 dst_sel:DWORD dst_unused:UNUSED_PAD src0_sel:WORD_1 src1_sel:DWORD
	v_fma_f16 v6, v18, v23, v6
	v_fma_f16 v1, v18, v1, -v7
	v_pack_b32_f16 v1, v6, v1
	ds_write2_b32 v10, v0, v1 offset0:72 offset1:96
	s_waitcnt vmcnt(12)
	v_lshrrev_b32_e32 v0, 16, v24
	v_mul_f16_sdwa v1, v19, v0 dst_sel:DWORD dst_unused:UNUSED_PAD src0_sel:WORD_1 src1_sel:DWORD
	v_mul_f16_sdwa v6, v19, v24 dst_sel:DWORD dst_unused:UNUSED_PAD src0_sel:WORD_1 src1_sel:DWORD
	v_fma_f16 v1, v19, v24, v1
	v_fma_f16 v0, v19, v0, -v6
	v_pack_b32_f16 v0, v1, v0
	s_waitcnt vmcnt(10)
	v_lshrrev_b32_e32 v1, 16, v25
	v_mul_f16_sdwa v6, v20, v1 dst_sel:DWORD dst_unused:UNUSED_PAD src0_sel:WORD_1 src1_sel:DWORD
	v_mul_f16_sdwa v7, v20, v25 dst_sel:DWORD dst_unused:UNUSED_PAD src0_sel:WORD_1 src1_sel:DWORD
	v_fma_f16 v6, v20, v25, v6
	v_fma_f16 v1, v20, v1, -v7
	v_pack_b32_f16 v1, v6, v1
	ds_write2_b32 v10, v0, v1 offset0:120 offset1:144
	s_waitcnt vmcnt(9)
	v_lshrrev_b32_e32 v0, 16, v30
	v_mul_f16_sdwa v1, v21, v0 dst_sel:DWORD dst_unused:UNUSED_PAD src0_sel:WORD_1 src1_sel:DWORD
	v_mul_f16_sdwa v6, v21, v30 dst_sel:DWORD dst_unused:UNUSED_PAD src0_sel:WORD_1 src1_sel:DWORD
	v_fma_f16 v1, v21, v30, v1
	v_fma_f16 v0, v21, v0, -v6
	v_pack_b32_f16 v0, v1, v0
	v_lshrrev_b32_e32 v1, 16, v32
	s_waitcnt vmcnt(8)
	v_mul_f16_sdwa v6, v34, v1 dst_sel:DWORD dst_unused:UNUSED_PAD src0_sel:WORD_1 src1_sel:DWORD
	v_mul_f16_sdwa v7, v34, v32 dst_sel:DWORD dst_unused:UNUSED_PAD src0_sel:WORD_1 src1_sel:DWORD
	v_fma_f16 v6, v34, v32, v6
	v_fma_f16 v1, v34, v1, -v7
	v_pack_b32_f16 v1, v6, v1
	ds_write2_b32 v10, v0, v1 offset0:168 offset1:192
	s_waitcnt vmcnt(7)
	v_lshrrev_b32_e32 v0, 16, v22
	s_waitcnt vmcnt(6)
	v_mul_f16_sdwa v1, v35, v0 dst_sel:DWORD dst_unused:UNUSED_PAD src0_sel:WORD_1 src1_sel:DWORD
	v_mul_f16_sdwa v6, v35, v22 dst_sel:DWORD dst_unused:UNUSED_PAD src0_sel:WORD_1 src1_sel:DWORD
	v_fma_f16 v1, v35, v22, v1
	v_fma_f16 v0, v35, v0, -v6
	v_pack_b32_f16 v0, v1, v0
	s_waitcnt vmcnt(5)
	v_lshrrev_b32_e32 v1, 16, v4
	s_waitcnt vmcnt(4)
	v_mul_f16_sdwa v6, v5, v1 dst_sel:DWORD dst_unused:UNUSED_PAD src0_sel:WORD_1 src1_sel:DWORD
	v_fma_f16 v6, v5, v4, v6
	v_mul_f16_sdwa v4, v5, v4 dst_sel:DWORD dst_unused:UNUSED_PAD src0_sel:WORD_1 src1_sel:DWORD
	v_fma_f16 v1, v5, v1, -v4
	v_pack_b32_f16 v1, v6, v1
	ds_write2_b32 v10, v0, v1 offset0:216 offset1:240
	s_waitcnt vmcnt(3)
	v_lshrrev_b32_e32 v0, 16, v33
	s_waitcnt vmcnt(2)
	v_mul_f16_sdwa v1, v36, v0 dst_sel:DWORD dst_unused:UNUSED_PAD src0_sel:WORD_1 src1_sel:DWORD
	v_mul_f16_sdwa v4, v36, v33 dst_sel:DWORD dst_unused:UNUSED_PAD src0_sel:WORD_1 src1_sel:DWORD
	v_fma_f16 v1, v36, v33, v1
	v_fma_f16 v0, v36, v0, -v4
	v_pack_b32_f16 v0, v1, v0
	s_waitcnt vmcnt(1)
	v_lshrrev_b32_e32 v1, 16, v2
	s_waitcnt vmcnt(0)
	v_mul_f16_sdwa v4, v3, v1 dst_sel:DWORD dst_unused:UNUSED_PAD src0_sel:WORD_1 src1_sel:DWORD
	v_fma_f16 v4, v3, v2, v4
	v_mul_f16_sdwa v2, v3, v2 dst_sel:DWORD dst_unused:UNUSED_PAD src0_sel:WORD_1 src1_sel:DWORD
	v_fma_f16 v1, v3, v1, -v2
	v_pack_b32_f16 v1, v4, v1
	v_add_u32_e32 v2, 0x400, v10
	ds_write2_b32 v2, v0, v1 offset0:8 offset1:32
.LBB0_3:
	s_or_b64 exec, exec, s[14:15]
	s_load_dwordx2 s[0:1], s[4:5], 0x20
	s_load_dwordx2 s[2:3], s[4:5], 0x8
	v_mov_b32_e32 v10, 0
	s_waitcnt lgkmcnt(0)
	; wave barrier
	s_waitcnt lgkmcnt(0)
                                        ; implicit-def: $vgpr8
                                        ; implicit-def: $vgpr3
                                        ; implicit-def: $vgpr1
                                        ; implicit-def: $vgpr5
                                        ; implicit-def: $vgpr7
                                        ; implicit-def: $vgpr13
	s_and_saveexec_b64 s[4:5], vcc
	s_cbranch_execz .LBB0_5
; %bb.4:
	v_lshl_add_u32 v8, v28, 2, v27
	ds_read2_b32 v[10:11], v8 offset1:24
	ds_read2_b32 v[12:13], v8 offset0:48 offset1:72
	ds_read2_b32 v[6:7], v8 offset0:96 offset1:120
	ds_read2_b32 v[4:5], v8 offset0:144 offset1:168
	ds_read2_b32 v[0:1], v8 offset0:192 offset1:216
	v_add_u32_e32 v2, 0x200, v8
	ds_read2_b32 v[2:3], v2 offset0:112 offset1:136
	ds_read_b32 v8, v8 offset:1152
.LBB0_5:
	s_or_b64 exec, exec, s[4:5]
	s_waitcnt lgkmcnt(0)
	v_pk_add_f16 v14, v11, v8 neg_lo:[0,1] neg_hi:[0,1]
	s_mov_b32 s22, 0xb770
	v_pk_add_f16 v16, v8, v11
	s_movk_i32 s8, 0x3b15
	v_mul_f16_sdwa v48, v14, s22 dst_sel:DWORD dst_unused:UNUSED_PAD src0_sel:WORD_1 src1_sel:DWORD
	v_lshrrev_b32_e32 v50, 16, v16
	v_mul_f16_e32 v49, 0xb770, v14
	v_fma_f16 v15, v16, s8, v48
	v_add_f16_e32 v17, v15, v10
	v_fma_f16 v15, v50, s8, -v49
	v_add_f16_sdwa v19, v15, v10 dst_sel:DWORD dst_unused:UNUSED_PAD src0_sel:DWORD src1_sel:WORD_1
	v_pk_add_f16 v15, v12, v3 neg_lo:[0,1] neg_hi:[0,1]
	s_mov_b32 s20, 0xba95
	v_pk_add_f16 v18, v3, v12
	s_movk_i32 s9, 0x388b
	v_mul_f16_sdwa v33, v15, s20 dst_sel:DWORD dst_unused:UNUSED_PAD src0_sel:WORD_1 src1_sel:DWORD
	v_lshrrev_b32_e32 v39, 16, v18
	v_mul_f16_e32 v38, 0xba95, v15
	v_fma_f16 v20, v18, s9, v33
	v_add_f16_e32 v21, v20, v17
	v_fma_f16 v17, v39, s9, -v38
	v_add_f16_e32 v19, v17, v19
	v_pk_add_f16 v17, v13, v2 neg_lo:[0,1] neg_hi:[0,1]
	s_mov_b32 s21, 0xbbf1
	v_pk_add_f16 v20, v2, v13
	s_movk_i32 s10, 0x2fb7
	v_mul_f16_sdwa v34, v17, s21 dst_sel:DWORD dst_unused:UNUSED_PAD src0_sel:WORD_1 src1_sel:DWORD
	v_lshrrev_b32_e32 v41, 16, v20
	v_mul_f16_e32 v40, 0xbbf1, v17
	v_fma_f16 v22, v20, s10, v34
	v_add_f16_e32 v22, v22, v21
	v_fma_f16 v21, v41, s10, -v40
	v_add_f16_e32 v23, v21, v19
	s_mov_b32 s11, 0xbb7b
	v_pk_add_f16 v19, v6, v1 neg_lo:[0,1] neg_hi:[0,1]
	v_pk_add_f16 v21, v1, v6
	s_mov_b32 s14, 0xb5ac
	v_mul_f16_sdwa v35, v19, s11 dst_sel:DWORD dst_unused:UNUSED_PAD src0_sel:WORD_1 src1_sel:DWORD
	v_fma_f16 v24, v21, s14, v35
	v_lshrrev_b32_e32 v44, 16, v21
	v_mul_f16_e32 v42, 0xbb7b, v19
	v_add_f16_e32 v24, v24, v22
	v_fma_f16 v22, v44, s14, -v42
	v_add_f16_e32 v25, v22, v23
	s_mov_b32 s15, 0xb94e
	v_pk_add_f16 v22, v7, v0 neg_lo:[0,1] neg_hi:[0,1]
	s_mov_b32 s16, 0xb9fd
	v_pk_add_f16 v23, v0, v7
	v_mul_f16_sdwa v37, v22, s15 dst_sel:DWORD dst_unused:UNUSED_PAD src0_sel:WORD_1 src1_sel:DWORD
	v_fma_f16 v30, v23, s16, v37
	v_lshrrev_b32_e32 v46, 16, v23
	v_mul_f16_e32 v43, 0xb94e, v22
	v_add_f16_e32 v30, v30, v24
	v_fma_f16 v24, v46, s16, -v43
	v_add_f16_e32 v31, v24, v25
	s_mov_b32 s17, 0xb3a8
	v_pk_add_f16 v24, v4, v5 neg_lo:[0,1] neg_hi:[0,1]
	s_mov_b32 s18, 0xbbc4
	v_pk_add_f16 v25, v5, v4
	v_mul_f16_sdwa v36, v24, s17 dst_sel:DWORD dst_unused:UNUSED_PAD src0_sel:WORD_1 src1_sel:DWORD
	v_fma_f16 v32, v25, s18, v36
	v_lshrrev_b32_e32 v47, 16, v25
	v_mul_f16_e32 v45, 0xb3a8, v24
	v_add_f16_e32 v32, v32, v30
	v_fma_f16 v30, v47, s18, -v45
	v_add_f16_e32 v31, v30, v31
	v_mul_lo_u16_e32 v30, 13, v26
	s_waitcnt lgkmcnt(0)
	; wave barrier
	s_and_saveexec_b64 s[4:5], vcc
	s_cbranch_execz .LBB0_7
; %bb.6:
	v_mul_f16_sdwa v53, v14, s20 dst_sel:DWORD dst_unused:UNUSED_PAD src0_sel:WORD_1 src1_sel:DWORD
	v_fma_f16 v54, v16, s9, v53
	v_mul_f16_sdwa v55, v15, s11 dst_sel:DWORD dst_unused:UNUSED_PAD src0_sel:WORD_1 src1_sel:DWORD
	v_add_f16_e32 v54, v54, v10
	v_fma_f16 v56, v18, s14, v55
	v_add_f16_e32 v54, v56, v54
	v_mul_f16_sdwa v56, v17, s17 dst_sel:DWORD dst_unused:UNUSED_PAD src0_sel:WORD_1 src1_sel:DWORD
	v_mul_f16_e32 v52, 0x3b15, v50
	v_fma_f16 v57, v20, s18, v56
	v_mul_f16_e32 v51, 0x3b15, v16
	v_add_f16_e32 v54, v57, v54
	s_movk_i32 s23, 0x394e
	s_movk_i32 s19, 0x3bf1
	v_mul_f16_e32 v57, 0x2fb7, v50
	v_mul_f16_e32 v59, 0xb5ac, v50
	s_movk_i32 s24, 0x3b7b
	v_mul_f16_sdwa v61, v14, s11 dst_sel:DWORD dst_unused:UNUSED_PAD src0_sel:WORD_1 src1_sel:DWORD
	v_mul_f16_e32 v50, 0xb9fd, v50
	v_add_f16_e32 v49, v49, v52
	v_mul_f16_sdwa v52, v14, s15 dst_sel:DWORD dst_unused:UNUSED_PAD src0_sel:WORD_1 src1_sel:DWORD
	v_fma_f16 v58, v14, s19, v57
	v_fma_f16 v60, v14, s24, v59
	;; [unrolled: 1-line block ×4, first 2 shown]
	v_sub_f16_e32 v48, v51, v48
	v_fma_f16 v51, v16, s16, v52
	v_fma_f16 v50, v14, s15, v50
	v_fma_f16 v52, v16, s16, -v52
	v_fma_f16 v59, v14, s11, v59
	v_fma_f16 v61, v16, s14, -v61
	;; [unrolled: 2-line block ×3, first 2 shown]
	v_add_f16_sdwa v58, v58, v10 dst_sel:DWORD dst_unused:UNUSED_PAD src0_sel:DWORD src1_sel:WORD_1
	v_add_f16_sdwa v60, v60, v10 dst_sel:DWORD dst_unused:UNUSED_PAD src0_sel:DWORD src1_sel:WORD_1
	v_add_f16_e32 v62, v62, v10
	v_add_f16_sdwa v63, v63, v10 dst_sel:DWORD dst_unused:UNUSED_PAD src0_sel:DWORD src1_sel:WORD_1
	v_add_f16_e32 v51, v51, v10
	;; [unrolled: 2-line block ×6, first 2 shown]
	v_alignbit_b32 v10, v10, v10, 16
	v_pk_add_f16 v11, v11, v10 op_sel:[0,1] op_sel_hi:[1,0]
	v_pk_add_f16 v11, v12, v11
	v_mul_f16_sdwa v12, v19, s23 dst_sel:DWORD dst_unused:UNUSED_PAD src0_sel:WORD_1 src1_sel:DWORD
	v_pk_add_f16 v11, v13, v11
	v_fma_f16 v13, v21, s16, v12
	v_add_f16_e32 v13, v13, v54
	v_mul_f16_sdwa v54, v22, s19 dst_sel:DWORD dst_unused:UNUSED_PAD src0_sel:WORD_1 src1_sel:DWORD
	v_fma_f16 v64, v23, s10, v54
	s_movk_i32 s25, 0x3770
	v_add_f16_e32 v13, v64, v13
	v_mul_f16_sdwa v64, v24, s25 dst_sel:DWORD dst_unused:UNUSED_PAD src0_sel:WORD_1 src1_sel:DWORD
	v_fma_f16 v65, v25, s8, v64
	v_add_f16_e32 v13, v65, v13
	s_movk_i32 s27, 0x33a8
	v_mul_f16_e32 v65, 0xbbc4, v39
	v_fma_f16 v66, v15, s27, v65
	v_add_f16_e32 v58, v66, v58
	v_mul_f16_e32 v66, 0xb5ac, v41
	v_fma_f16 v67, v17, s11, v66
	v_add_f16_e32 v58, v67, v58
	;; [unrolled: 3-line block ×3, first 2 shown]
	s_movk_i32 s26, 0x3a95
	v_mul_f16_e32 v68, 0x388b, v46
	v_fma_f16 v69, v22, s26, v68
	v_add_f16_e32 v58, v69, v58
	v_mul_f16_e32 v69, 0xb9fd, v47
	v_fma_f16 v70, v24, s23, v69
	v_add_f16_e32 v58, v70, v58
	;; [unrolled: 3-line block ×5, first 2 shown]
	v_mul_f16_sdwa v73, v15, s23 dst_sel:DWORD dst_unused:UNUSED_PAD src0_sel:WORD_1 src1_sel:DWORD
	v_fma_f16 v74, v18, s16, v73
	v_add_f16_e32 v62, v74, v62
	v_mul_f16_sdwa v74, v17, s25 dst_sel:DWORD dst_unused:UNUSED_PAD src0_sel:WORD_1 src1_sel:DWORD
	v_fma_f16 v75, v20, s8, v74
	v_add_f16_e32 v62, v75, v62
	;; [unrolled: 3-line block ×5, first 2 shown]
	v_mul_f16_e32 v78, 0x2fb7, v39
	v_fma_f16 v79, v15, s21, v78
	v_add_f16_e32 v63, v79, v63
	v_mul_f16_e32 v79, 0x388b, v41
	v_fma_f16 v80, v17, s26, v79
	v_fma_f16 v55, v18, s14, -v55
	v_add_f16_e32 v63, v80, v63
	v_mul_f16_e32 v80, 0xbbc4, v44
	v_add_f16_e32 v53, v55, v53
	v_fma_f16 v55, v20, s18, -v56
	v_fma_f16 v81, v19, s17, v80
	v_add_f16_e32 v53, v55, v53
	v_fma_f16 v12, v21, s16, -v12
	v_add_f16_e32 v63, v81, v63
	v_mul_f16_e32 v81, 0x3b15, v46
	v_fma_f16 v70, v15, s23, v70
	v_add_f16_e32 v12, v12, v53
	v_fma_f16 v53, v23, s10, -v54
	v_pk_add_f16 v6, v6, v11
	v_fma_f16 v82, v22, s22, v81
	v_add_f16_e32 v59, v70, v59
	v_fma_f16 v70, v17, s25, v71
	v_add_f16_e32 v12, v53, v12
	v_mul_f16_e32 v53, 0x388b, v18
	v_mul_f16_e32 v39, 0x388b, v39
	v_fma_f16 v54, v25, s8, -v64
	v_pk_add_f16 v6, v7, v6
	v_add_f16_e32 v63, v82, v63
	v_mul_f16_e32 v82, 0xb5ac, v47
	v_add_f16_e32 v59, v70, v59
	v_fma_f16 v70, v19, s21, v72
	v_add_f16_e32 v12, v54, v12
	v_mul_f16_e32 v54, 0x2fb7, v20
	v_mul_f16_e32 v41, 0x2fb7, v41
	v_add_f16_e32 v38, v38, v39
	v_sub_f16_e32 v33, v53, v33
	v_pk_add_f16 v4, v4, v6
	v_fma_f16 v83, v24, s24, v82
	v_add_f16_e32 v59, v70, v59
	v_mul_f16_e32 v70, 0xbbc4, v46
	v_fma_f16 v65, v15, s17, v65
	v_mul_f16_e32 v39, 0xb5ac, v21
	v_mul_f16_e32 v44, 0xb5ac, v44
	v_add_f16_e32 v38, v38, v49
	v_add_f16_e32 v40, v40, v41
	v_add_f16_e32 v33, v33, v48
	v_sub_f16_e32 v34, v54, v34
	v_pk_add_f16 v4, v5, v4
	v_add_f16_e32 v63, v83, v63
	v_mul_f16_sdwa v83, v15, s19 dst_sel:DWORD dst_unused:UNUSED_PAD src0_sel:WORD_1 src1_sel:DWORD
	v_fma_f16 v71, v22, s27, v70
	v_add_f16_e32 v57, v65, v57
	v_fma_f16 v65, v17, s24, v66
	v_mul_f16_e32 v49, 0xb9fd, v23
	v_mul_f16_e32 v46, 0xb9fd, v46
	v_add_f16_e32 v38, v40, v38
	v_add_f16_e32 v42, v42, v44
	;; [unrolled: 1-line block ×3, first 2 shown]
	v_sub_f16_e32 v35, v39, v35
	v_pk_add_f16 v0, v0, v4
	v_fma_f16 v84, v18, s10, v83
	v_fma_f16 v78, v15, s19, v78
	v_add_f16_e32 v59, v71, v59
	v_mul_f16_e32 v71, 0x388b, v47
	v_add_f16_e32 v57, v65, v57
	v_fma_f16 v65, v19, s25, v67
	v_mul_f16_e32 v41, 0xbbc4, v25
	v_mul_f16_e32 v47, 0xbbc4, v47
	v_add_f16_e32 v38, v42, v38
	v_add_f16_e32 v43, v43, v46
	;; [unrolled: 1-line block ×3, first 2 shown]
	v_sub_f16_e32 v37, v49, v37
	v_pk_add_f16 v0, v1, v0
	v_add_f16_e32 v51, v84, v51
	v_mul_f16_sdwa v84, v17, s20 dst_sel:DWORD dst_unused:UNUSED_PAD src0_sel:WORD_1 src1_sel:DWORD
	v_add_f16_e32 v50, v78, v50
	v_fma_f16 v78, v17, s20, v79
	v_add_f16_e32 v57, v65, v57
	v_fma_f16 v65, v22, s20, v68
	s_mov_b32 s20, 0x388b2fb7
	v_add_f16_e32 v38, v43, v38
	v_add_f16_e32 v45, v45, v47
	;; [unrolled: 1-line block ×3, first 2 shown]
	v_sub_f16_e32 v36, v41, v36
	v_pk_add_f16 v0, v2, v0
	v_pk_mul_f16 v40, v16, s20
	s_mov_b32 s20, 0xbbf1ba95
	s_mov_b32 s21, 0xb5acbbc4
	v_add_f16_e32 v38, v45, v38
	v_add_f16_e32 v33, v36, v33
	v_pk_add_f16 v0, v3, v0
	v_pk_fma_f16 v44, v14, s20, v40 op_sel:[0,0,1] op_sel_hi:[1,1,0] neg_lo:[1,0,0] neg_hi:[1,0,0]
	v_pk_mul_f16 v42, v18, s21
	s_mov_b32 s21, 0xb3a8bb7b
	s_mov_b32 s22, 0xbbc4b5ac
	v_pk_fma_f16 v40, v14, s20, v40 op_sel:[0,0,1] op_sel_hi:[1,1,0]
	v_add_lshl_u32 v36, v28, v30, 2
	v_pk_add_f16 v0, v8, v0
	v_pack_b32_f16 v1, v33, v38
	s_mov_b32 s20, 0xffff
	v_add_f16_e32 v50, v78, v50
	v_fma_f16 v78, v19, s27, v80
	v_pk_fma_f16 v46, v15, s21, v42 op_sel:[0,0,1] op_sel_hi:[1,1,0] neg_lo:[1,0,0] neg_hi:[1,0,0]
	v_pk_mul_f16 v43, v20, s22
	s_mov_b32 s22, 0x3b7bb3a8
	s_mov_b32 s23, 0xb9fd3b15
	v_pk_fma_f16 v42, v15, s21, v42 op_sel:[0,0,1] op_sel_hi:[1,1,0]
	ds_write2_b32 v36, v0, v1 offset1:1
	v_bfi_b32 v0, s20, v40, v44
	v_fma_f16 v85, v20, s9, v84
	v_add_f16_e32 v50, v78, v50
	v_fma_f16 v78, v22, s25, v81
	v_pk_fma_f16 v47, v17, s22, v43 op_sel:[0,0,1] op_sel_hi:[1,1,0] neg_lo:[1,0,0] neg_hi:[1,0,0]
	v_pk_mul_f16 v45, v21, s23
	s_mov_b32 s23, 0x3770394e
	s_mov_b32 s24, 0x2fb7388b
	v_pk_fma_f16 v43, v17, s22, v43 op_sel:[0,0,1] op_sel_hi:[1,1,0]
	v_pk_add_f16 v0, v0, v10
	v_bfi_b32 v1, s20, v42, v46
	v_add_f16_e32 v51, v85, v51
	v_mul_f16_sdwa v85, v19, s27 dst_sel:DWORD dst_unused:UNUSED_PAD src0_sel:WORD_1 src1_sel:DWORD
	v_add_f16_e32 v50, v78, v50
	v_fma_f16 v78, v24, s11, v82
	v_fma_f16 v72, v24, s26, v71
	v_pk_fma_f16 v53, v19, s23, v45 op_sel:[0,0,1] op_sel_hi:[1,1,0] neg_lo:[1,0,0] neg_hi:[1,0,0]
	v_pk_mul_f16 v48, v23, s24
	s_mov_b32 s24, 0xba953bf1
	v_pk_fma_f16 v45, v19, s23, v45 op_sel:[0,0,1] op_sel_hi:[1,1,0]
	v_pk_add_f16 v0, v1, v0
	v_bfi_b32 v1, s20, v43, v47
	v_fma_f16 v86, v21, s18, v85
	v_add_f16_e32 v50, v78, v50
	v_fma_f16 v78, v18, s10, -v83
	v_add_f16_e32 v59, v72, v59
	v_fma_f16 v72, v18, s16, -v73
	v_pk_fma_f16 v54, v22, s24, v48 op_sel:[0,0,1] op_sel_hi:[1,1,0] neg_lo:[1,0,0] neg_hi:[1,0,0]
	s_mov_b32 s27, 0x3b15b9fd
	v_pk_fma_f16 v48, v22, s24, v48 op_sel:[0,0,1] op_sel_hi:[1,1,0]
	v_pk_add_f16 v0, v1, v0
	v_bfi_b32 v1, s20, v45, v53
	v_add_f16_e32 v51, v86, v51
	v_mul_f16_sdwa v86, v22, s25 dst_sel:DWORD dst_unused:UNUSED_PAD src0_sel:WORD_1 src1_sel:DWORD
	v_add_f16_e32 v52, v78, v52
	v_fma_f16 v78, v20, s9, -v84
	v_add_f16_e32 v61, v72, v61
	v_fma_f16 v72, v20, s8, -v74
	v_pk_mul_f16 v34, v25, s27
	s_mov_b32 s27, 0xb94e3770
	v_pk_add_f16 v0, v1, v0
	v_bfi_b32 v1, s20, v48, v54
	v_fma_f16 v87, v23, s8, v86
	v_add_f16_e32 v52, v78, v52
	v_fma_f16 v78, v21, s18, -v85
	v_add_f16_e32 v61, v72, v61
	v_fma_f16 v72, v21, s10, -v75
	v_pk_fma_f16 v35, v24, s27, v34 op_sel:[0,0,1] op_sel_hi:[1,1,0] neg_lo:[1,0,0] neg_hi:[1,0,0]
	v_pk_add_f16 v0, v1, v0
	v_pk_fma_f16 v1, v24, s27, v34 op_sel:[0,0,1] op_sel_hi:[1,1,0]
	v_add_f16_e32 v51, v87, v51
	v_mul_f16_sdwa v87, v24, s11 dst_sel:DWORD dst_unused:UNUSED_PAD src0_sel:WORD_1 src1_sel:DWORD
	v_add_f16_e32 v52, v78, v52
	v_fma_f16 v78, v23, s8, -v86
	v_add_f16_e32 v61, v72, v61
	v_fma_f16 v72, v23, s18, -v76
	v_add_f16_e32 v57, v65, v57
	v_fma_f16 v65, v24, s15, v69
	v_bfi_b32 v1, s20, v1, v35
	v_add_f16_e32 v52, v78, v52
	v_fma_f16 v78, v25, s14, -v87
	v_add_f16_e32 v61, v72, v61
	v_fma_f16 v72, v25, s9, -v77
	v_add_f16_e32 v57, v65, v57
	v_pk_add_f16 v0, v1, v0
	v_add_f16_e32 v52, v78, v52
	v_add_f16_e32 v61, v72, v61
	v_alignbit_b32 v1, v57, v0, 16
	v_pack_b32_f16 v0, v12, v0
	ds_write2_b32 v36, v0, v1 offset0:2 offset1:3
	v_pack_b32_f16 v0, v52, v50
	v_pack_b32_f16 v1, v61, v59
	ds_write2_b32 v36, v1, v0 offset0:4 offset1:5
	v_pk_mul_f16 v0, v16, s18 op_sel_hi:[1,0]
	v_pk_fma_f16 v1, v14, s17, v0 op_sel:[0,0,1] op_sel_hi:[1,0,0] neg_lo:[1,0,0] neg_hi:[1,0,0]
	v_pk_mul_f16 v2, v18, s8 op_sel_hi:[1,0]
	v_pk_add_f16 v1, v1, v10
	v_pk_fma_f16 v3, v15, s25, v2 op_sel:[0,0,1] op_sel_hi:[1,0,0] neg_lo:[1,0,0] neg_hi:[1,0,0]
	v_pk_add_f16 v1, v3, v1
	v_pk_mul_f16 v3, v20, s16 op_sel_hi:[1,0]
	v_pk_fma_f16 v4, v17, s15, v3 op_sel:[0,0,1] op_sel_hi:[1,0,0] neg_lo:[1,0,0] neg_hi:[1,0,0]
	v_pk_add_f16 v1, v4, v1
	v_pk_mul_f16 v4, v21, s9 op_sel_hi:[1,0]
	v_pk_fma_f16 v0, v14, s17, v0 op_sel:[0,0,1] op_sel_hi:[1,0,0]
	v_pk_fma_f16 v5, v19, s26, v4 op_sel:[0,0,1] op_sel_hi:[1,0,0] neg_lo:[1,0,0] neg_hi:[1,0,0]
	v_pk_add_f16 v0, v0, v10
	v_pk_fma_f16 v2, v15, s25, v2 op_sel:[0,0,1] op_sel_hi:[1,0,0]
	v_pk_add_f16 v1, v5, v1
	v_pk_mul_f16 v5, v23, s14 op_sel_hi:[1,0]
	v_pk_add_f16 v0, v2, v0
	v_pk_fma_f16 v2, v17, s15, v3 op_sel:[0,0,1] op_sel_hi:[1,0,0]
	v_pk_fma_f16 v6, v22, s11, v5 op_sel:[0,0,1] op_sel_hi:[1,0,0] neg_lo:[1,0,0] neg_hi:[1,0,0]
	v_pk_add_f16 v0, v2, v0
	v_pk_fma_f16 v2, v19, s26, v4 op_sel:[0,0,1] op_sel_hi:[1,0,0]
	v_pk_add_f16 v1, v6, v1
	v_pk_mul_f16 v6, v25, s10 op_sel_hi:[1,0]
	v_pk_add_f16 v0, v2, v0
	v_pk_fma_f16 v2, v22, s11, v5 op_sel:[0,0,1] op_sel_hi:[1,0,0]
	v_pk_fma_f16 v7, v24, s19, v6 op_sel:[0,0,1] op_sel_hi:[1,0,0] neg_lo:[1,0,0] neg_hi:[1,0,0]
	v_pk_add_f16 v0, v2, v0
	v_pk_fma_f16 v2, v24, s19, v6 op_sel:[0,0,1] op_sel_hi:[1,0,0]
	v_fma_f16 v88, v25, s14, v87
	v_pk_add_f16 v37, v40, v10
	v_pk_add_f16 v1, v7, v1
	;; [unrolled: 1-line block ×3, first 2 shown]
	v_add_f16_e32 v51, v88, v51
	v_pk_add_f16 v37, v42, v37
	v_alignbit_b32 v2, v1, v0, 16
	v_alignbit_b32 v0, v0, v1, 16
	v_pk_mul_f16 v39, v24, s27
	v_pk_add_f16 v37, v43, v37
	v_fma_f16 v55, v22, s17, v70
	ds_write2_b32 v36, v0, v2 offset0:6 offset1:7
	v_pack_b32_f16 v0, v51, v63
	v_add_f16_e32 v49, v44, v10
	v_pk_add_f16 v37, v45, v37
	v_mul_f16_e32 v41, 0x3a95, v24
	ds_write_b32 v36, v0 offset:32
	v_pack_b32_f16 v0, v55, v34
	v_bfi_b32 v1, s20, v60, v39
	v_add_f16_e32 v49, v46, v49
	v_pk_add_f16 v0, v0, v1
	v_bfi_b32 v1, s20, v41, v37
	v_add_f16_e32 v49, v47, v49
	v_pk_add_f16 v1, v71, v1 neg_lo:[0,1] neg_hi:[0,1]
	v_pk_add_f16 v2, v48, v37
	v_add_f16_e32 v49, v53, v49
	v_bfi_b32 v1, s20, v1, v2
	v_add_f16_e32 v49, v54, v49
	v_pk_add_f16 v0, v1, v0
	v_add_f16_e32 v49, v35, v49
	v_alignbit_b32 v1, v58, v0, 16
	v_pack_b32_f16 v0, v62, v0
	s_mov_b32 s8, 0x5040100
	ds_write2_b32 v36, v0, v1 offset0:9 offset1:10
	v_pack_b32_f16 v0, v13, v49
	v_perm_b32 v1, v31, v32, s8
	ds_write2_b32 v36, v0, v1 offset0:11 offset1:12
.LBB0_7:
	s_or_b64 exec, exec, s[4:5]
	s_movk_i32 s4, 0x4f
	v_add_u16_e32 v6, 52, v26
	s_load_dwordx4 s[8:11], s[0:1], 0x0
	v_add_co_u32_e64 v22, s[0:1], 26, v26
	v_mul_lo_u16_sdwa v7, v6, s4 dst_sel:DWORD dst_unused:UNUSED_PAD src0_sel:BYTE_0 src1_sel:DWORD
	v_add_u32_e32 v0, -13, v26
	v_cmp_gt_u16_e64 s[0:1], 13, v26
	v_lshrrev_b16_e32 v35, 10, v7
	v_cndmask_b32_e64 v23, v0, v26, s[0:1]
	v_mul_lo_u16_e32 v7, 13, v35
	v_mul_i32_i24_e32 v0, 12, v23
	v_sub_u16_e32 v6, v6, v7
	v_mul_hi_i32_i24_e32 v1, 12, v23
	v_mov_b32_e32 v34, s3
	v_add_co_u32_e64 v0, s[0:1], s2, v0
	v_and_b32_e32 v38, 0xff, v6
	v_addc_co_u32_e64 v1, s[0:1], v34, v1, s[0:1]
	v_mad_u64_u32 v[6:7], s[0:1], v38, 12, s[2:3]
	v_mul_lo_u16_sdwa v2, v22, s4 dst_sel:DWORD dst_unused:UNUSED_PAD src0_sel:BYTE_0 src1_sel:DWORD
	v_lshrrev_b16_e32 v24, 10, v2
	v_mul_lo_u16_e32 v2, 13, v24
	s_waitcnt lgkmcnt(0)
	; wave barrier
	s_waitcnt lgkmcnt(0)
	global_load_dwordx3 v[3:5], v[0:1], off
	v_add_lshl_u32 v33, v28, v26, 2
	global_load_dwordx3 v[6:8], v[6:7], off
	v_sub_u16_e32 v0, v22, v2
	v_and_b32_e32 v25, 0xff, v0
	v_mad_u64_u32 v[0:1], s[0:1], v25, 12, s[2:3]
	v_add_u32_e32 v47, 0x400, v33
	v_cmp_lt_u16_e64 s[0:1], 12, v26
	global_load_dwordx3 v[0:2], v[0:1], off
	ds_read2_b32 v[10:11], v33 offset1:26
	ds_read2_b32 v[12:13], v33 offset0:52 offset1:78
	ds_read2_b32 v[14:15], v33 offset0:156 offset1:182
	;; [unrolled: 1-line block ×5, first 2 shown]
	s_waitcnt lgkmcnt(4)
	v_lshrrev_b32_e32 v37, 16, v13
	s_waitcnt lgkmcnt(3)
	v_lshrrev_b32_e32 v39, 16, v14
	;; [unrolled: 2-line block ×3, first 2 shown]
	v_lshrrev_b32_e32 v36, 16, v10
	s_waitcnt lgkmcnt(1)
	v_lshrrev_b32_e32 v42, 16, v18
	s_waitcnt lgkmcnt(0)
	v_lshrrev_b32_e32 v48, 16, v20
	v_lshrrev_b32_e32 v43, 16, v15
	;; [unrolled: 1-line block ×7, first 2 shown]
	s_waitcnt lgkmcnt(0)
	; wave barrier
	s_waitcnt vmcnt(2)
	v_mul_f16_sdwa v51, v13, v3 dst_sel:DWORD dst_unused:UNUSED_PAD src0_sel:DWORD src1_sel:WORD_1
	v_mul_f16_sdwa v53, v14, v4 dst_sel:DWORD dst_unused:UNUSED_PAD src0_sel:DWORD src1_sel:WORD_1
	;; [unrolled: 1-line block ×6, first 2 shown]
	v_fma_f16 v37, v37, v3, v51
	v_fma_f16 v39, v39, v4, v53
	;; [unrolled: 1-line block ×3, first 2 shown]
	v_sub_f16_e32 v39, v36, v39
	v_sub_f16_e32 v40, v37, v40
	v_fma_f16 v13, v13, v3, -v50
	v_fma_f16 v17, v17, v5, -v54
	s_waitcnt vmcnt(0)
	v_mul_f16_sdwa v50, v42, v0 dst_sel:DWORD dst_unused:UNUSED_PAD src0_sel:DWORD src1_sel:WORD_1
	v_mul_f16_sdwa v53, v15, v1 dst_sel:DWORD dst_unused:UNUSED_PAD src0_sel:DWORD src1_sel:WORD_1
	;; [unrolled: 1-line block ×3, first 2 shown]
	v_fma_f16 v36, v36, 2.0, -v39
	v_fma_f16 v37, v37, 2.0, -v40
	v_fma_f16 v14, v14, v4, -v52
	v_mul_f16_sdwa v51, v18, v0 dst_sel:DWORD dst_unused:UNUSED_PAD src0_sel:DWORD src1_sel:WORD_1
	v_mul_f16_sdwa v52, v43, v1 dst_sel:DWORD dst_unused:UNUSED_PAD src0_sel:DWORD src1_sel:WORD_1
	;; [unrolled: 1-line block ×3, first 2 shown]
	v_fma_f16 v18, v18, v0, -v50
	v_fma_f16 v43, v43, v1, v53
	v_fma_f16 v20, v20, v2, -v54
	v_sub_f16_e32 v37, v36, v37
	v_mul_f16_sdwa v56, v45, v6 dst_sel:DWORD dst_unused:UNUSED_PAD src0_sel:DWORD src1_sel:WORD_1
	v_mul_f16_sdwa v59, v16, v7 dst_sel:DWORD dst_unused:UNUSED_PAD src0_sel:DWORD src1_sel:WORD_1
	;; [unrolled: 1-line block ×3, first 2 shown]
	v_fma_f16 v50, v36, 2.0, -v37
	v_sub_f16_e32 v36, v41, v43
	v_sub_f16_e32 v20, v18, v20
	v_mul_f16_sdwa v57, v19, v6 dst_sel:DWORD dst_unused:UNUSED_PAD src0_sel:DWORD src1_sel:WORD_1
	v_mul_f16_sdwa v58, v46, v7 dst_sel:DWORD dst_unused:UNUSED_PAD src0_sel:DWORD src1_sel:WORD_1
	;; [unrolled: 1-line block ×3, first 2 shown]
	v_fma_f16 v42, v42, v0, v51
	v_fma_f16 v48, v48, v2, v55
	v_fma_f16 v19, v19, v6, -v56
	v_fma_f16 v46, v46, v7, v59
	v_fma_f16 v21, v21, v8, -v60
	v_fma_f16 v18, v18, 2.0, -v20
	v_add_f16_e32 v20, v36, v20
	v_sub_f16_e32 v14, v10, v14
	v_sub_f16_e32 v17, v13, v17
	v_fma_f16 v41, v41, 2.0, -v36
	v_sub_f16_e32 v43, v42, v48
	v_fma_f16 v48, v36, 2.0, -v20
	v_sub_f16_e32 v36, v44, v46
	v_sub_f16_e32 v21, v19, v21
	v_fma_f16 v45, v45, v6, v57
	v_fma_f16 v49, v49, v8, v61
	v_fma_f16 v10, v10, 2.0, -v14
	v_fma_f16 v13, v13, 2.0, -v17
	;; [unrolled: 1-line block ×3, first 2 shown]
	v_add_f16_e32 v21, v36, v21
	v_sub_f16_e32 v13, v10, v13
	v_sub_f16_e32 v40, v14, v40
	v_add_f16_e32 v17, v39, v17
	v_fma_f16 v44, v44, 2.0, -v36
	v_sub_f16_e32 v46, v45, v49
	v_fma_f16 v49, v36, 2.0, -v21
	v_cndmask_b32_e64 v36, 0, 52, s[0:1]
	v_fma_f16 v15, v15, v1, -v52
	v_fma_f16 v10, v10, 2.0, -v13
	v_fma_f16 v14, v14, 2.0, -v40
	;; [unrolled: 1-line block ×3, first 2 shown]
	v_add_u32_e32 v23, v23, v36
	v_sub_f16_e32 v15, v11, v15
	v_add_lshl_u32 v36, v28, v23, 2
	v_pack_b32_f16 v10, v10, v50
	v_pack_b32_f16 v14, v14, v39
	v_fma_f16 v11, v11, 2.0, -v15
	v_fma_f16 v42, v42, 2.0, -v43
	ds_write2_b32 v36, v10, v14 offset1:13
	v_pack_b32_f16 v10, v13, v37
	v_pack_b32_f16 v13, v40, v17
	v_sub_f16_e32 v18, v11, v18
	v_sub_f16_e32 v42, v41, v42
	;; [unrolled: 1-line block ×3, first 2 shown]
	ds_write2_b32 v36, v10, v13 offset0:26 offset1:39
	v_mul_u32_u24_e32 v10, 52, v24
	v_fma_f16 v16, v16, v7, -v58
	v_fma_f16 v11, v11, 2.0, -v18
	v_fma_f16 v41, v41, 2.0, -v42
	;; [unrolled: 1-line block ×3, first 2 shown]
	v_add_u32_e32 v10, v10, v25
	v_sub_f16_e32 v16, v12, v16
	v_add_lshl_u32 v37, v28, v10, 2
	v_pack_b32_f16 v10, v11, v41
	v_pack_b32_f16 v11, v15, v48
	v_fma_f16 v12, v12, 2.0, -v16
	v_fma_f16 v45, v45, 2.0, -v46
	ds_write2_b32 v37, v10, v11 offset1:13
	v_pack_b32_f16 v10, v18, v42
	v_pack_b32_f16 v11, v43, v20
	v_sub_f16_e32 v19, v12, v19
	v_sub_f16_e32 v45, v44, v45
	v_sub_f16_e32 v46, v16, v46
	ds_write2_b32 v37, v10, v11 offset0:26 offset1:39
	v_mul_u32_u24_e32 v10, 52, v35
	v_fma_f16 v12, v12, 2.0, -v19
	v_fma_f16 v44, v44, 2.0, -v45
	;; [unrolled: 1-line block ×3, first 2 shown]
	v_add_u32_e32 v10, v10, v38
	v_add_lshl_u32 v38, v28, v10, 2
	v_pack_b32_f16 v10, v12, v44
	v_pack_b32_f16 v11, v16, v49
	ds_write2_b32 v38, v10, v11 offset1:13
	v_pack_b32_f16 v10, v19, v45
	v_pack_b32_f16 v11, v46, v21
	v_lshlrev_b32_e32 v35, 3, v26
	ds_write2_b32 v38, v10, v11 offset0:26 offset1:39
	s_waitcnt lgkmcnt(0)
	; wave barrier
	s_waitcnt lgkmcnt(0)
	global_load_dwordx2 v[10:11], v35, s[2:3] offset:156
	v_lshlrev_b32_e32 v12, 3, v22
	global_load_dwordx2 v[12:13], v12, s[2:3] offset:156
	ds_read2_b32 v[14:15], v33 offset1:26
	ds_read2_b32 v[16:17], v33 offset0:104 offset1:130
	ds_read2_b32 v[18:19], v33 offset0:208 offset1:234
	v_add_co_u32_e64 v35, s[0:1], s2, v35
	v_addc_co_u32_e64 v52, s[0:1], 0, v34, s[0:1]
	s_waitcnt lgkmcnt(1)
	v_lshrrev_b32_e32 v40, 16, v16
	s_waitcnt lgkmcnt(0)
	v_lshrrev_b32_e32 v41, 16, v18
	ds_read2_b32 v[20:21], v33 offset0:52 offset1:78
	ds_read2_b32 v[22:23], v33 offset0:156 offset1:182
	;; [unrolled: 1-line block ×3, first 2 shown]
	v_lshrrev_b32_e32 v43, 16, v17
	v_lshrrev_b32_e32 v44, 16, v19
	;; [unrolled: 1-line block ×3, first 2 shown]
	s_waitcnt lgkmcnt(1)
	v_lshrrev_b32_e32 v46, 16, v22
	s_waitcnt lgkmcnt(0)
	v_lshrrev_b32_e32 v48, 16, v24
	v_lshrrev_b32_e32 v50, 16, v23
	;; [unrolled: 1-line block ×3, first 2 shown]
	s_movk_i32 s0, 0x3aee
	s_mov_b32 s1, 0xbaee
	v_lshrrev_b32_e32 v42, 16, v15
	v_lshrrev_b32_e32 v45, 16, v20
	;; [unrolled: 1-line block ×3, first 2 shown]
	s_waitcnt lgkmcnt(0)
	; wave barrier
	s_waitcnt vmcnt(1)
	v_mul_f16_sdwa v34, v40, v10 dst_sel:DWORD dst_unused:UNUSED_PAD src0_sel:DWORD src1_sel:WORD_1
	v_fma_f16 v34, v16, v10, -v34
	v_mul_f16_sdwa v16, v16, v10 dst_sel:DWORD dst_unused:UNUSED_PAD src0_sel:DWORD src1_sel:WORD_1
	v_fma_f16 v16, v40, v10, v16
	v_mul_f16_sdwa v40, v41, v11 dst_sel:DWORD dst_unused:UNUSED_PAD src0_sel:DWORD src1_sel:WORD_1
	v_fma_f16 v40, v18, v11, -v40
	v_mul_f16_sdwa v18, v18, v11 dst_sel:DWORD dst_unused:UNUSED_PAD src0_sel:DWORD src1_sel:WORD_1
	v_fma_f16 v18, v41, v11, v18
	s_waitcnt vmcnt(0)
	v_mul_f16_sdwa v41, v43, v12 dst_sel:DWORD dst_unused:UNUSED_PAD src0_sel:DWORD src1_sel:WORD_1
	v_fma_f16 v41, v17, v12, -v41
	v_mul_f16_sdwa v17, v17, v12 dst_sel:DWORD dst_unused:UNUSED_PAD src0_sel:DWORD src1_sel:WORD_1
	v_fma_f16 v17, v43, v12, v17
	v_mul_f16_sdwa v43, v44, v13 dst_sel:DWORD dst_unused:UNUSED_PAD src0_sel:DWORD src1_sel:WORD_1
	v_fma_f16 v43, v19, v13, -v43
	v_mul_f16_sdwa v19, v19, v13 dst_sel:DWORD dst_unused:UNUSED_PAD src0_sel:DWORD src1_sel:WORD_1
	v_fma_f16 v19, v44, v13, v19
	v_mul_f16_sdwa v44, v46, v10 dst_sel:DWORD dst_unused:UNUSED_PAD src0_sel:DWORD src1_sel:WORD_1
	v_fma_f16 v44, v22, v10, -v44
	v_mul_f16_sdwa v22, v22, v10 dst_sel:DWORD dst_unused:UNUSED_PAD src0_sel:DWORD src1_sel:WORD_1
	v_fma_f16 v22, v46, v10, v22
	v_mul_f16_sdwa v46, v48, v11 dst_sel:DWORD dst_unused:UNUSED_PAD src0_sel:DWORD src1_sel:WORD_1
	v_fma_f16 v46, v24, v11, -v46
	v_mul_f16_sdwa v24, v24, v11 dst_sel:DWORD dst_unused:UNUSED_PAD src0_sel:DWORD src1_sel:WORD_1
	v_fma_f16 v24, v48, v11, v24
	v_mul_f16_sdwa v48, v50, v12 dst_sel:DWORD dst_unused:UNUSED_PAD src0_sel:DWORD src1_sel:WORD_1
	v_fma_f16 v48, v23, v12, -v48
	v_mul_f16_sdwa v23, v23, v12 dst_sel:DWORD dst_unused:UNUSED_PAD src0_sel:DWORD src1_sel:WORD_1
	v_fma_f16 v23, v50, v12, v23
	v_mul_f16_sdwa v50, v51, v13 dst_sel:DWORD dst_unused:UNUSED_PAD src0_sel:DWORD src1_sel:WORD_1
	v_fma_f16 v50, v25, v13, -v50
	v_mul_f16_sdwa v25, v25, v13 dst_sel:DWORD dst_unused:UNUSED_PAD src0_sel:DWORD src1_sel:WORD_1
	v_add_f16_e32 v53, v34, v40
	v_fma_f16 v25, v51, v13, v25
	v_add_f16_e32 v51, v14, v34
	v_fma_f16 v14, v53, -0.5, v14
	v_sub_f16_e32 v53, v16, v18
	v_fma_f16 v54, v53, s0, v14
	v_fma_f16 v14, v53, s1, v14
	v_add_f16_e32 v53, v39, v16
	v_add_f16_e32 v16, v16, v18
	v_add_f16_e32 v53, v53, v18
	v_fma_f16 v16, v16, -0.5, v39
	v_sub_f16_e32 v18, v34, v40
	v_add_f16_e32 v39, v41, v43
	v_fma_f16 v34, v18, s1, v16
	v_fma_f16 v16, v18, s0, v16
	v_add_f16_e32 v18, v15, v41
	v_fma_f16 v15, v39, -0.5, v15
	v_sub_f16_e32 v39, v17, v19
	v_add_f16_e32 v51, v51, v40
	v_fma_f16 v40, v39, s0, v15
	v_fma_f16 v15, v39, s1, v15
	v_add_f16_e32 v39, v42, v17
	v_add_f16_e32 v17, v17, v19
	v_add_f16_e32 v39, v39, v19
	v_fma_f16 v17, v17, -0.5, v42
	v_sub_f16_e32 v19, v41, v43
	v_add_f16_e32 v42, v44, v46
	v_fma_f16 v41, v19, s1, v17
	v_fma_f16 v17, v19, s0, v17
	v_add_f16_e32 v19, v20, v44
	v_fma_f16 v20, v42, -0.5, v20
	v_sub_f16_e32 v42, v22, v24
	v_add_f16_e32 v18, v18, v43
	;; [unrolled: 14-line block ×3, first 2 shown]
	v_fma_f16 v46, v45, s0, v21
	v_fma_f16 v21, v45, s1, v21
	v_add_f16_e32 v45, v49, v23
	v_add_f16_e32 v23, v23, v25
	v_add_f16_e32 v24, v24, v50
	v_add_f16_e32 v45, v45, v25
	v_fma_f16 v23, v23, -0.5, v49
	v_sub_f16_e32 v25, v48, v50
	v_pack_b32_f16 v14, v14, v16
	v_pack_b32_f16 v15, v15, v17
	v_fma_f16 v48, v25, s1, v23
	v_fma_f16 v23, v25, s0, v23
	v_pack_b32_f16 v25, v51, v53
	v_pack_b32_f16 v16, v18, v39
	ds_write2_b32 v33, v14, v15 offset0:104 offset1:130
	v_pack_b32_f16 v14, v19, v42
	v_pack_b32_f16 v17, v24, v45
	;; [unrolled: 1-line block ×3, first 2 shown]
	ds_write2_b32 v33, v25, v16 offset1:26
	v_pack_b32_f16 v16, v40, v41
	v_pack_b32_f16 v15, v43, v44
	ds_write2_b32 v33, v14, v17 offset0:156 offset1:182
	v_pack_b32_f16 v14, v46, v48
	ds_write2_b32 v33, v34, v16 offset0:52 offset1:78
	;; [unrolled: 2-line block ×3, first 2 shown]
	v_pack_b32_f16 v14, v21, v23
	v_lshlrev_b32_e32 v34, 2, v26
	ds_write2_b32 v47, v16, v14 offset0:4 offset1:30
	v_sub_co_u32_e64 v14, s[0:1], v35, v34
	v_subbrev_co_u32_e64 v15, s[0:1], 0, v52, s[0:1]
	s_waitcnt lgkmcnt(0)
	; wave barrier
	s_waitcnt lgkmcnt(0)
	global_load_dword v39, v[14:15], off offset:572
	global_load_dword v40, v[14:15], off offset:676
	global_load_dword v41, v[14:15], off offset:780
	global_load_dword v42, v[14:15], off offset:884
	global_load_dword v43, v[14:15], off offset:988
	global_load_dword v44, v[14:15], off offset:1092
	ds_read2_b32 v[17:18], v33 offset1:26
	ds_read2_b32 v[14:15], v33 offset0:156 offset1:182
	ds_read2_b32 v[19:20], v33 offset0:208 offset1:234
	;; [unrolled: 1-line block ×5, first 2 shown]
	s_waitcnt lgkmcnt(5)
	v_lshrrev_b32_e32 v16, 16, v17
	s_waitcnt lgkmcnt(4)
	v_lshrrev_b32_e32 v25, 16, v14
	v_lshrrev_b32_e32 v48, 16, v15
	s_waitcnt lgkmcnt(3)
	v_lshrrev_b32_e32 v47, 16, v19
	;; [unrolled: 3-line block ×3, first 2 shown]
	v_lshrrev_b32_e32 v51, 16, v24
	v_lshrrev_b32_e32 v35, 16, v18
	;; [unrolled: 1-line block ×6, first 2 shown]
	s_waitcnt vmcnt(5)
	v_mul_f16_sdwa v54, v25, v39 dst_sel:DWORD dst_unused:UNUSED_PAD src0_sel:DWORD src1_sel:WORD_1
	v_fma_f16 v54, v14, v39, -v54
	v_mul_f16_sdwa v14, v14, v39 dst_sel:DWORD dst_unused:UNUSED_PAD src0_sel:DWORD src1_sel:WORD_1
	v_fma_f16 v14, v25, v39, v14
	s_waitcnt vmcnt(4)
	v_mul_f16_sdwa v25, v48, v40 dst_sel:DWORD dst_unused:UNUSED_PAD src0_sel:DWORD src1_sel:WORD_1
	v_fma_f16 v25, v15, v40, -v25
	v_mul_f16_sdwa v15, v15, v40 dst_sel:DWORD dst_unused:UNUSED_PAD src0_sel:DWORD src1_sel:WORD_1
	v_fma_f16 v55, v48, v40, v15
	;; [unrolled: 5-line block ×6, first 2 shown]
	v_sub_f16_e32 v15, v17, v54
	v_sub_f16_e32 v48, v16, v14
	v_fma_f16 v14, v17, 2.0, -v15
	v_sub_f16_e32 v17, v18, v25
	v_sub_f16_e32 v49, v35, v55
	;; [unrolled: 1-line block ×3, first 2 shown]
	v_fma_f16 v47, v16, 2.0, -v48
	v_fma_f16 v16, v18, 2.0, -v17
	;; [unrolled: 1-line block ×4, first 2 shown]
	v_sub_f16_e32 v21, v22, v60
	v_sub_f16_e32 v23, v45, v61
	;; [unrolled: 1-line block ×4, first 2 shown]
	v_fma_f16 v20, v22, 2.0, -v21
	v_fma_f16 v22, v45, 2.0, -v23
	v_sub_f16_e32 v25, v46, v63
	v_lshl_add_u32 v35, v26, 2, v29
	v_pack_b32_f16 v45, v14, v47
	v_pack_b32_f16 v59, v16, v50
	v_fma_f16 v52, v52, 2.0, -v51
	v_fma_f16 v53, v53, 2.0, -v54
	v_sub_f16_e32 v57, v58, v24
	v_fma_f16 v24, v46, 2.0, -v25
	v_pack_b32_f16 v46, v15, v48
	ds_write2_b32 v35, v45, v59 offset1:26
	v_pack_b32_f16 v45, v17, v49
	v_sub_f16_e32 v55, v56, v62
	ds_write2_b32 v35, v46, v45 offset0:156 offset1:182
	v_pack_b32_f16 v45, v18, v52
	v_pack_b32_f16 v59, v20, v53
	v_fma_f16 v56, v56, 2.0, -v55
	v_pack_b32_f16 v46, v19, v51
	ds_write2_b32 v35, v45, v59 offset0:52 offset1:78
	v_pack_b32_f16 v45, v21, v54
	ds_write2_b32 v35, v46, v45 offset0:208 offset1:234
	v_pack_b32_f16 v45, v22, v56
	v_fma_f16 v58, v58, 2.0, -v57
	ds_write_b32 v35, v45 offset:416
	v_add_u32_e32 v45, v34, v29
	v_pack_b32_f16 v46, v23, v55
	ds_write_b32 v45, v46 offset:1040
	v_pack_b32_f16 v46, v24, v58
	ds_write_b32 v35, v46 offset:520
	;; [unrolled: 2-line block ×3, first 2 shown]
	s_waitcnt lgkmcnt(0)
	; wave barrier
	s_waitcnt lgkmcnt(0)
	s_and_saveexec_b64 s[0:1], vcc
	s_cbranch_execz .LBB0_9
; %bb.8:
	global_load_dword v46, v27, s[6:7] offset:1248
	s_add_u32 s2, s6, 0x4e0
	s_addc_u32 s3, s7, 0
	global_load_dword v71, v27, s[2:3] offset:96
	global_load_dword v72, v27, s[2:3] offset:192
	;; [unrolled: 1-line block ×11, first 2 shown]
	ds_read2_b32 v[59:60], v35 offset1:24
	ds_read2_b32 v[61:62], v35 offset0:48 offset1:72
	ds_read2_b32 v[63:64], v35 offset0:96 offset1:120
	;; [unrolled: 1-line block ×4, first 2 shown]
	global_load_dword v83, v27, s[2:3] offset:1152
	v_add_u32_e32 v82, 0x200, v35
	ds_read2_b32 v[69:70], v82 offset0:112 offset1:136
	s_waitcnt lgkmcnt(5)
	v_lshrrev_b32_e32 v84, 16, v59
	v_lshrrev_b32_e32 v85, 16, v60
	s_waitcnt lgkmcnt(4)
	v_lshrrev_b32_e32 v86, 16, v61
	v_lshrrev_b32_e32 v87, 16, v62
	;; [unrolled: 3-line block ×5, first 2 shown]
	s_waitcnt vmcnt(9)
	v_mul_f16_sdwa v96, v87, v73 dst_sel:DWORD dst_unused:UNUSED_PAD src0_sel:DWORD src1_sel:WORD_1
	v_mul_f16_sdwa v97, v62, v73 dst_sel:DWORD dst_unused:UNUSED_PAD src0_sel:DWORD src1_sel:WORD_1
	s_waitcnt vmcnt(8)
	v_mul_f16_sdwa v98, v88, v74 dst_sel:DWORD dst_unused:UNUSED_PAD src0_sel:DWORD src1_sel:WORD_1
	v_mul_f16_sdwa v99, v63, v74 dst_sel:DWORD dst_unused:UNUSED_PAD src0_sel:DWORD src1_sel:WORD_1
	;; [unrolled: 1-line block ×4, first 2 shown]
	v_fma_f16 v59, v59, v46, -v94
	v_fma_f16 v46, v84, v46, v95
	v_pack_b32_f16 v46, v59, v46
	v_mul_f16_sdwa v59, v85, v71 dst_sel:DWORD dst_unused:UNUSED_PAD src0_sel:DWORD src1_sel:WORD_1
	v_mul_f16_sdwa v84, v60, v71 dst_sel:DWORD dst_unused:UNUSED_PAD src0_sel:DWORD src1_sel:WORD_1
	;; [unrolled: 1-line block ×4, first 2 shown]
	s_waitcnt vmcnt(7)
	v_mul_f16_sdwa v100, v89, v75 dst_sel:DWORD dst_unused:UNUSED_PAD src0_sel:DWORD src1_sel:WORD_1
	v_mul_f16_sdwa v101, v64, v75 dst_sel:DWORD dst_unused:UNUSED_PAD src0_sel:DWORD src1_sel:WORD_1
	s_waitcnt vmcnt(6)
	v_mul_f16_sdwa v102, v90, v76 dst_sel:DWORD dst_unused:UNUSED_PAD src0_sel:DWORD src1_sel:WORD_1
	v_mul_f16_sdwa v103, v65, v76 dst_sel:DWORD dst_unused:UNUSED_PAD src0_sel:DWORD src1_sel:WORD_1
	;; [unrolled: 3-line block ×5, first 2 shown]
	v_fma_f16 v59, v60, v71, -v59
	v_fma_f16 v60, v85, v71, v84
	v_fma_f16 v61, v61, v72, -v94
	v_fma_f16 v71, v86, v72, v95
	v_fma_f16 v62, v62, v73, -v96
	v_fma_f16 v72, v87, v73, v97
	v_fma_f16 v63, v63, v74, -v98
	v_fma_f16 v73, v88, v74, v99
	v_fma_f16 v64, v64, v75, -v100
	v_fma_f16 v74, v89, v75, v101
	v_fma_f16 v65, v65, v76, -v102
	v_fma_f16 v75, v90, v76, v103
	v_fma_f16 v66, v66, v77, -v104
	v_fma_f16 v76, v91, v77, v105
	v_fma_f16 v67, v67, v78, -v106
	v_fma_f16 v77, v92, v78, v107
	v_fma_f16 v68, v68, v79, -v108
	v_fma_f16 v78, v93, v79, v109
	v_pack_b32_f16 v59, v59, v60
	v_pack_b32_f16 v60, v61, v71
	;; [unrolled: 1-line block ×9, first 2 shown]
	ds_write2_b32 v35, v46, v59 offset1:24
	ds_write2_b32 v35, v60, v61 offset0:48 offset1:72
	ds_write2_b32 v35, v62, v63 offset0:96 offset1:120
	;; [unrolled: 1-line block ×4, first 2 shown]
	s_waitcnt lgkmcnt(5)
	v_lshrrev_b32_e32 v46, 16, v69
	s_waitcnt vmcnt(2)
	v_mul_f16_sdwa v59, v46, v80 dst_sel:DWORD dst_unused:UNUSED_PAD src0_sel:DWORD src1_sel:WORD_1
	v_mul_f16_sdwa v60, v69, v80 dst_sel:DWORD dst_unused:UNUSED_PAD src0_sel:DWORD src1_sel:WORD_1
	v_fma_f16 v59, v69, v80, -v59
	v_fma_f16 v46, v46, v80, v60
	ds_read_b32 v61, v35 offset:1152
	v_pack_b32_f16 v46, v59, v46
	v_lshrrev_b32_e32 v59, 16, v70
	s_waitcnt vmcnt(1)
	v_mul_f16_sdwa v60, v59, v81 dst_sel:DWORD dst_unused:UNUSED_PAD src0_sel:DWORD src1_sel:WORD_1
	v_mul_f16_sdwa v62, v70, v81 dst_sel:DWORD dst_unused:UNUSED_PAD src0_sel:DWORD src1_sel:WORD_1
	v_fma_f16 v60, v70, v81, -v60
	v_fma_f16 v59, v59, v81, v62
	v_pack_b32_f16 v59, v60, v59
	ds_write2_b32 v82, v46, v59 offset0:112 offset1:136
	s_waitcnt lgkmcnt(1)
	v_lshrrev_b32_e32 v46, 16, v61
	s_waitcnt vmcnt(0)
	v_mul_f16_sdwa v59, v46, v83 dst_sel:DWORD dst_unused:UNUSED_PAD src0_sel:DWORD src1_sel:WORD_1
	v_mul_f16_sdwa v60, v61, v83 dst_sel:DWORD dst_unused:UNUSED_PAD src0_sel:DWORD src1_sel:WORD_1
	v_fma_f16 v59, v61, v83, -v59
	v_fma_f16 v46, v46, v83, v60
	v_pack_b32_f16 v46, v59, v46
	ds_write_b32 v35, v46 offset:1152
.LBB0_9:
	s_or_b64 exec, exec, s[0:1]
	s_waitcnt lgkmcnt(0)
	; wave barrier
	s_waitcnt lgkmcnt(0)
	s_and_saveexec_b64 s[0:1], vcc
	s_cbranch_execz .LBB0_11
; %bb.10:
	v_add_u32_e32 v24, 0x200, v35
	ds_read2_b32 v[14:15], v35 offset1:24
	ds_read2_b32 v[16:17], v35 offset0:48 offset1:72
	ds_read2_b32 v[18:19], v35 offset0:96 offset1:120
	;; [unrolled: 1-line block ×5, first 2 shown]
	ds_read_b32 v32, v35 offset:1152
	s_waitcnt lgkmcnt(6)
	v_lshrrev_b32_e32 v47, 16, v14
	v_lshrrev_b32_e32 v48, 16, v15
	s_waitcnt lgkmcnt(5)
	v_lshrrev_b32_e32 v50, 16, v16
	v_lshrrev_b32_e32 v49, 16, v17
	;; [unrolled: 3-line block ×6, first 2 shown]
	s_waitcnt lgkmcnt(0)
	v_lshrrev_b32_e32 v31, 16, v32
.LBB0_11:
	s_or_b64 exec, exec, s[0:1]
	v_add_u32_e32 v46, 0x1a0, v45
	v_add_u32_e32 v45, 0x208, v45
	s_waitcnt lgkmcnt(0)
	; wave barrier
	s_and_saveexec_b64 s[0:1], vcc
	s_cbranch_execz .LBB0_13
; %bb.12:
	v_sub_f16_e32 v59, v15, v32
	v_mul_f16_e32 v60, 0xba95, v59
	v_add_f16_e32 v61, v31, v48
	s_movk_i32 s2, 0x388b
	v_sub_f16_e32 v63, v16, v25
	v_fma_f16 v62, v61, s2, v60
	v_mul_f16_e32 v64, 0xbb7b, v63
	v_add_f16_e32 v65, v57, v50
	s_mov_b32 s3, 0xb5ac
	v_add_f16_e32 v62, v47, v62
	v_fma_f16 v66, v65, s3, v64
	v_add_f16_e32 v62, v66, v62
	v_sub_f16_e32 v66, v17, v24
	v_mul_f16_e32 v67, 0xb3a8, v66
	v_add_f16_e32 v68, v58, v49
	s_mov_b32 s4, 0xbbc4
	v_fma_f16 v69, v68, s4, v67
	v_add_f16_e32 v62, v69, v62
	v_sub_f16_e32 v69, v18, v23
	v_mul_f16_e32 v70, 0x394e, v69
	v_add_f16_e32 v71, v55, v52
	s_mov_b32 s5, 0xb9fd
	v_fma_f16 v72, v71, s5, v70
	v_add_f16_e32 v62, v72, v62
	v_sub_f16_e32 v72, v19, v22
	v_mul_f16_e32 v73, 0x3bf1, v72
	v_add_f16_e32 v74, v56, v51
	s_movk_i32 s14, 0x2fb7
	v_fma_f16 v75, v74, s14, v73
	v_add_f16_e32 v62, v75, v62
	v_sub_f16_e32 v75, v20, v21
	v_mul_f16_e32 v76, 0x3770, v75
	v_add_f16_e32 v77, v54, v53
	s_movk_i32 s15, 0x3b15
	v_fma_f16 v78, v77, s15, v76
	v_sub_f16_e32 v79, v48, v31
	v_add_f16_e32 v62, v78, v62
	v_add_f16_e32 v78, v32, v15
	v_mul_f16_e32 v80, 0xba95, v79
	v_sub_f16_e32 v83, v50, v57
	v_fma_f16 v81, v78, s2, -v80
	v_add_f16_e32 v82, v25, v16
	v_mul_f16_e32 v84, 0xbb7b, v83
	v_add_f16_e32 v81, v14, v81
	v_fma_f16 v85, v82, s3, -v84
	v_sub_f16_e32 v86, v49, v58
	v_add_f16_e32 v81, v85, v81
	v_add_f16_e32 v85, v24, v17
	v_mul_f16_e32 v87, 0xb3a8, v86
	v_fma_f16 v88, v85, s4, -v87
	v_sub_f16_e32 v89, v52, v55
	v_add_f16_e32 v81, v88, v81
	v_add_f16_e32 v88, v23, v18
	v_mul_f16_e32 v90, 0x394e, v89
	;; [unrolled: 5-line block ×4, first 2 shown]
	v_fma_f16 v97, v94, s15, -v96
	v_add_f16_e32 v81, v97, v81
	v_mul_f16_e32 v97, 0xbbf1, v59
	v_fma_f16 v98, v61, s14, v97
	v_mul_f16_e32 v99, 0xb3a8, v63
	v_add_f16_e32 v98, v47, v98
	v_fma_f16 v100, v65, s4, v99
	v_add_f16_e32 v98, v100, v98
	v_mul_f16_e32 v100, 0x3b7b, v66
	v_fma_f16 v101, v68, s3, v100
	v_add_f16_e32 v98, v101, v98
	v_mul_f16_e32 v101, 0x3770, v69
	;; [unrolled: 3-line block ×5, first 2 shown]
	v_fma_f16 v105, v78, s14, -v104
	v_mul_f16_e32 v106, 0xb3a8, v83
	v_add_f16_e32 v105, v14, v105
	v_fma_f16 v107, v82, s4, -v106
	v_add_f16_e32 v105, v107, v105
	v_mul_f16_e32 v107, 0x3b7b, v86
	v_fma_f16 v108, v85, s3, -v107
	v_add_f16_e32 v105, v108, v105
	v_mul_f16_e32 v108, 0x3770, v89
	;; [unrolled: 3-line block ×5, first 2 shown]
	v_fma_f16 v112, v61, s3, v111
	v_mul_f16_e32 v113, 0x394e, v63
	v_add_f16_e32 v112, v47, v112
	v_fma_f16 v114, v65, s5, v113
	v_add_f16_e32 v112, v114, v112
	v_mul_f16_e32 v114, 0x3770, v66
	v_fma_f16 v115, v68, s15, v114
	v_add_f16_e32 v112, v115, v112
	v_mul_f16_e32 v115, 0xbbf1, v69
	;; [unrolled: 3-line block ×5, first 2 shown]
	v_fma_f16 v119, v78, s3, -v118
	v_mul_f16_e32 v120, 0x394e, v83
	v_add_f16_e32 v119, v14, v119
	v_fma_f16 v121, v82, s5, -v120
	v_add_f16_e32 v119, v121, v119
	v_mul_f16_e32 v121, 0x3770, v86
	v_fma_f16 v122, v85, s15, -v121
	v_add_f16_e32 v119, v122, v119
	v_mul_f16_e32 v122, 0xbbf1, v89
	;; [unrolled: 3-line block ×5, first 2 shown]
	v_fma_f16 v126, v61, s5, v125
	v_mul_f16_e32 v127, 0x3bf1, v63
	v_add_f16_e32 v126, v47, v126
	v_fma_f16 v128, v65, s14, v127
	v_add_f16_e32 v126, v128, v126
	v_mul_f16_e32 v128, 0xba95, v66
	v_fma_f16 v129, v68, s2, v128
	v_add_f16_e32 v126, v129, v126
	v_mul_f16_e32 v129, 0x33a8, v69
	;; [unrolled: 3-line block ×5, first 2 shown]
	v_fma_f16 v133, v78, s5, -v132
	v_mul_f16_e32 v134, 0x3bf1, v83
	v_add_f16_e32 v133, v14, v133
	v_fma_f16 v135, v82, s14, -v134
	v_fma_f16 v60, v61, s2, -v60
	v_add_f16_e32 v133, v135, v133
	v_mul_f16_e32 v135, 0xba95, v86
	v_add_f16_e32 v60, v47, v60
	v_fma_f16 v64, v65, s3, -v64
	v_fma_f16 v136, v85, s2, -v135
	v_add_f16_e32 v60, v64, v60
	v_fma_f16 v64, v68, s4, -v67
	v_add_f16_e32 v133, v136, v133
	v_mul_f16_e32 v136, 0x33a8, v89
	v_add_f16_e32 v60, v64, v60
	v_fma_f16 v64, v71, s5, -v70
	v_fma_f16 v137, v88, s4, -v136
	v_add_f16_e32 v60, v64, v60
	;; [unrolled: 7-line block ×3, first 2 shown]
	v_fma_f16 v64, v78, s2, v80
	v_add_f16_e32 v133, v138, v133
	v_mul_f16_e32 v138, 0xbb7b, v95
	v_add_f16_e32 v64, v14, v64
	v_fma_f16 v67, v82, s3, v84
	v_fma_f16 v139, v94, s3, -v138
	v_add_f16_e32 v64, v67, v64
	v_fma_f16 v67, v85, s4, v87
	v_add_f16_e32 v133, v139, v133
	v_mul_f16_e32 v139, 0xb3a8, v59
	v_add_f16_e32 v64, v67, v64
	v_fma_f16 v67, v88, s5, v90
	v_fma_f16 v140, v61, s4, v139
	v_mul_f16_e32 v141, 0x3770, v63
	v_add_f16_e32 v64, v67, v64
	v_fma_f16 v67, v91, s14, v93
	v_add_f16_e32 v140, v47, v140
	v_fma_f16 v142, v65, s15, v141
	v_fma_f16 v139, v61, s4, -v139
	s_movk_i32 s21, 0x3770
	v_fma_f16 v125, v61, s5, -v125
	v_fma_f16 v111, v61, s3, -v111
	;; [unrolled: 1-line block ×3, first 2 shown]
	v_add_f16_e32 v64, v67, v64
	v_fma_f16 v67, v94, s15, v96
	v_mul_f16_e32 v61, 0x3b15, v61
	v_add_f16_e32 v140, v142, v140
	v_mul_f16_e32 v142, 0xb94e, v66
	v_add_f16_e32 v139, v47, v139
	v_fma_f16 v141, v65, s15, -v141
	s_movk_i32 s26, 0x3a95
	v_add_f16_e32 v125, v47, v125
	v_fma_f16 v127, v65, s14, -v127
	v_add_f16_e32 v111, v47, v111
	v_fma_f16 v113, v65, s5, -v113
	;; [unrolled: 2-line block ×3, first 2 shown]
	v_add_f16_e32 v64, v67, v64
	v_fma_f16 v67, v59, s21, v61
	v_mul_f16_e32 v65, 0x388b, v65
	v_fma_f16 v143, v68, s5, v142
	v_add_f16_e32 v139, v141, v139
	v_fma_f16 v141, v68, s5, -v142
	s_movk_i32 s20, 0x3bf1
	v_add_f16_e32 v125, v127, v125
	v_fma_f16 v127, v68, s2, -v128
	v_add_f16_e32 v111, v113, v111
	v_fma_f16 v113, v68, s15, -v114
	;; [unrolled: 2-line block ×3, first 2 shown]
	v_add_f16_e32 v67, v47, v67
	v_fma_f16 v70, v63, s26, v65
	v_mul_f16_e32 v68, 0x2fb7, v68
	v_add_f16_e32 v67, v70, v67
	v_fma_f16 v70, v66, s20, v68
	v_add_f16_e32 v140, v143, v140
	v_mul_f16_e32 v143, 0x3a95, v69
	s_movk_i32 s23, 0x3b7b
	v_add_f16_e32 v67, v70, v67
	v_mul_f16_e32 v70, 0xb5ac, v71
	v_fma_f16 v144, v71, s2, v143
	v_add_f16_e32 v139, v141, v139
	v_fma_f16 v141, v71, s2, -v143
	v_add_f16_e32 v125, v127, v125
	v_fma_f16 v127, v71, s4, -v129
	;; [unrolled: 2-line block ×4, first 2 shown]
	v_fma_f16 v71, v69, s23, v70
	s_movk_i32 s19, 0x394e
	v_add_f16_e32 v67, v71, v67
	v_mul_f16_e32 v71, 0xb9fd, v74
	v_fma_f16 v73, v72, s19, v71
	v_add_f16_e32 v140, v144, v140
	v_mul_f16_e32 v144, 0xbb7b, v72
	s_movk_i32 s25, 0x33a8
	v_add_f16_e32 v67, v73, v67
	v_mul_f16_e32 v73, 0xbbc4, v77
	v_add_f16_e32 v15, v15, v14
	v_fma_f16 v145, v74, s3, v144
	v_add_f16_e32 v139, v141, v139
	v_fma_f16 v141, v74, s3, -v144
	v_add_f16_e32 v125, v127, v125
	v_fma_f16 v127, v74, s15, -v130
	;; [unrolled: 2-line block ×4, first 2 shown]
	v_fma_f16 v74, v75, s25, v73
	s_mov_b32 s19, 0xb770
	v_add_f16_e32 v15, v16, v15
	v_add_f16_e32 v140, v145, v140
	v_mul_f16_e32 v145, 0x3bf1, v75
	s_mov_b32 s16, 0xba95
	v_add_f16_e32 v67, v74, v67
	v_mul_f16_e32 v74, 0xb770, v79
	v_add_f16_e32 v15, v17, v15
	v_add_f16_e32 v16, v48, v47
	v_fma_f16 v17, v59, s19, v61
	v_fma_f16 v146, v77, s14, v145
	v_add_f16_e32 v139, v141, v139
	v_fma_f16 v141, v77, s14, -v145
	s_mov_b32 s22, 0xbbf1
	v_add_f16_e32 v125, v127, v125
	v_fma_f16 v127, v77, s3, -v131
	v_add_f16_e32 v111, v113, v111
	v_fma_f16 v113, v77, s2, -v117
	;; [unrolled: 2-line block ×3, first 2 shown]
	v_fma_f16 v76, v78, s15, v74
	v_mul_f16_e32 v77, 0xba95, v83
	v_add_f16_e32 v15, v18, v15
	v_add_f16_e32 v16, v50, v16
	;; [unrolled: 1-line block ×3, first 2 shown]
	v_fma_f16 v18, v63, s16, v65
	v_add_f16_e32 v140, v146, v140
	v_mul_f16_e32 v146, 0xb3a8, v79
	s_mov_b32 s17, 0xbb7b
	v_add_f16_e32 v76, v14, v76
	v_fma_f16 v79, v82, s2, v77
	v_add_f16_e32 v16, v49, v16
	v_add_f16_e32 v17, v18, v17
	v_fma_f16 v18, v66, s22, v68
	s_mov_b32 s24, 0xb94e
	v_add_f16_e32 v76, v79, v76
	v_mul_f16_e32 v79, 0xbbf1, v86
	v_add_f16_e32 v16, v52, v16
	v_add_f16_e32 v17, v18, v17
	v_fma_f16 v18, v69, s17, v70
	v_fma_f16 v147, v78, s4, -v146
	v_mul_f16_e32 v148, 0x3770, v83
	s_mov_b32 s18, 0xb3a8
	v_fma_f16 v80, v85, s14, v79
	v_add_f16_e32 v15, v19, v15
	v_add_f16_e32 v16, v51, v16
	;; [unrolled: 1-line block ×3, first 2 shown]
	v_fma_f16 v18, v72, s24, v71
	v_add_f16_e32 v147, v14, v147
	v_fma_f16 v149, v82, s15, -v148
	v_add_f16_e32 v76, v80, v76
	v_mul_f16_e32 v80, 0xbb7b, v89
	v_add_f16_e32 v15, v20, v15
	v_add_f16_e32 v16, v53, v16
	;; [unrolled: 1-line block ×3, first 2 shown]
	v_fma_f16 v18, v75, s18, v73
	v_add_f16_e32 v147, v149, v147
	v_mul_f16_e32 v149, 0xb94e, v86
	v_add_f16_e32 v139, v141, v139
	v_fma_f16 v141, v78, s4, v146
	v_add_f16_e32 v125, v127, v125
	v_fma_f16 v127, v78, s5, v132
	v_add_f16_e32 v111, v113, v111
	v_fma_f16 v113, v78, s3, v118
	v_add_f16_e32 v97, v99, v97
	v_fma_f16 v99, v78, s14, v104
	v_fma_f16 v83, v88, s3, v80
	v_add_f16_e32 v15, v21, v15
	v_add_f16_e32 v16, v54, v16
	;; [unrolled: 1-line block ×3, first 2 shown]
	v_fma_f16 v18, v78, s15, -v74
	v_fma_f16 v150, v85, s5, -v149
	v_add_f16_e32 v141, v14, v141
	v_add_f16_e32 v127, v14, v127
	;; [unrolled: 1-line block ×4, first 2 shown]
	v_fma_f16 v100, v82, s4, v106
	v_add_f16_e32 v76, v83, v76
	v_mul_f16_e32 v83, 0xb94e, v92
	v_add_f16_e32 v15, v22, v15
	v_add_f16_e32 v16, v56, v16
	;; [unrolled: 1-line block ×3, first 2 shown]
	v_fma_f16 v18, v82, s2, -v77
	v_add_f16_e32 v147, v150, v147
	v_mul_f16_e32 v150, 0x3a95, v89
	v_fma_f16 v128, v82, s14, v134
	v_fma_f16 v114, v82, s5, v120
	v_add_f16_e32 v99, v100, v99
	v_fma_f16 v100, v85, s3, v107
	v_fma_f16 v84, v91, s5, v83
	v_add_f16_e32 v15, v23, v15
	v_add_f16_e32 v16, v55, v16
	;; [unrolled: 1-line block ×3, first 2 shown]
	v_fma_f16 v18, v85, s14, -v79
	v_fma_f16 v151, v88, s2, -v150
	v_fma_f16 v142, v82, s15, v148
	v_add_f16_e32 v127, v128, v127
	v_fma_f16 v128, v85, s2, v135
	v_add_f16_e32 v113, v114, v113
	;; [unrolled: 2-line block ×4, first 2 shown]
	v_mul_f16_e32 v84, 0xb3a8, v95
	v_add_f16_e32 v15, v24, v15
	v_add_f16_e32 v16, v58, v16
	;; [unrolled: 1-line block ×3, first 2 shown]
	v_fma_f16 v18, v88, s3, -v80
	v_add_f16_e32 v147, v151, v147
	v_mul_f16_e32 v151, 0xbb7b, v92
	v_add_f16_e32 v141, v142, v141
	v_fma_f16 v142, v85, s5, v149
	v_add_f16_e32 v127, v128, v127
	v_fma_f16 v128, v88, s4, v136
	;; [unrolled: 2-line block ×4, first 2 shown]
	v_fma_f16 v86, v94, s4, v84
	v_add_f16_e32 v15, v25, v15
	v_add_f16_e32 v16, v57, v16
	;; [unrolled: 1-line block ×3, first 2 shown]
	v_fma_f16 v18, v91, s5, -v83
	v_fma_f16 v152, v91, s3, -v151
	v_add_f16_e32 v141, v142, v141
	v_fma_f16 v142, v88, s2, v150
	v_add_f16_e32 v127, v128, v127
	v_fma_f16 v128, v91, s15, v137
	;; [unrolled: 2-line block ×4, first 2 shown]
	v_add_f16_e32 v76, v86, v76
	v_add_f16_e32 v15, v32, v15
	;; [unrolled: 1-line block ×4, first 2 shown]
	v_fma_f16 v18, v94, s4, -v84
	v_add_f16_e32 v147, v152, v147
	v_mul_f16_e32 v152, 0x3bf1, v95
	v_add_f16_e32 v141, v142, v141
	v_fma_f16 v142, v91, s3, v151
	v_add_f16_e32 v127, v128, v127
	v_fma_f16 v128, v94, s3, v138
	v_add_f16_e32 v113, v114, v113
	v_fma_f16 v114, v94, s2, v124
	v_add_f16_e32 v99, v100, v99
	v_add_f16_e32 v14, v18, v14
	v_lshl_add_u32 v18, v30, 2, v29
	v_pack_b32_f16 v19, v76, v67
	v_pack_b32_f16 v15, v15, v16
	v_fma_f16 v153, v94, s14, -v152
	v_add_f16_e32 v141, v142, v141
	v_fma_f16 v142, v94, s14, v152
	v_add_f16_e32 v127, v128, v127
	v_add_f16_e32 v113, v114, v113
	ds_write2_b32 v18, v15, v19 offset1:1
	v_pack_b32_f16 v15, v99, v97
	v_pack_b32_f16 v16, v64, v60
	v_add_f16_e32 v147, v153, v147
	v_add_f16_e32 v141, v142, v141
	ds_write2_b32 v18, v16, v15 offset0:2 offset1:3
	v_pack_b32_f16 v15, v127, v125
	v_pack_b32_f16 v16, v113, v111
	ds_write2_b32 v18, v16, v15 offset0:4 offset1:5
	v_pack_b32_f16 v15, v147, v140
	v_pack_b32_f16 v16, v141, v139
	;; [unrolled: 3-line block ×4, first 2 shown]
	v_pack_b32_f16 v14, v14, v17
	ds_write2_b32 v18, v16, v15 offset0:10 offset1:11
	ds_write_b32 v18, v14 offset:48
.LBB0_13:
	s_or_b64 exec, exec, s[0:1]
	s_waitcnt lgkmcnt(0)
	; wave barrier
	s_waitcnt lgkmcnt(0)
	ds_read2_b32 v[14:15], v33 offset1:26
	ds_read2_b32 v[16:17], v33 offset0:52 offset1:78
	ds_read2_b32 v[18:19], v33 offset0:156 offset1:182
	;; [unrolled: 1-line block ×4, first 2 shown]
	v_add_u32_e32 v32, 0x400, v33
	s_waitcnt lgkmcnt(3)
	v_lshrrev_b32_e32 v30, 16, v17
	v_mul_f16_sdwa v56, v3, v30 dst_sel:DWORD dst_unused:UNUSED_PAD src0_sel:WORD_1 src1_sel:DWORD
	s_waitcnt lgkmcnt(2)
	v_lshrrev_b32_e32 v31, 16, v18
	v_fma_f16 v56, v3, v17, v56
	v_mul_f16_sdwa v17, v3, v17 dst_sel:DWORD dst_unused:UNUSED_PAD src0_sel:WORD_1 src1_sel:DWORD
	v_fma_f16 v3, v3, v30, -v17
	v_mul_f16_sdwa v17, v4, v31 dst_sel:DWORD dst_unused:UNUSED_PAD src0_sel:WORD_1 src1_sel:DWORD
	s_waitcnt lgkmcnt(1)
	v_lshrrev_b32_e32 v47, 16, v21
	v_fma_f16 v17, v4, v18, v17
	v_mul_f16_sdwa v18, v4, v18 dst_sel:DWORD dst_unused:UNUSED_PAD src0_sel:WORD_1 src1_sel:DWORD
	ds_read2_b32 v[24:25], v32 offset0:4 offset1:30
	v_fma_f16 v4, v4, v31, -v18
	v_mul_f16_sdwa v18, v5, v47 dst_sel:DWORD dst_unused:UNUSED_PAD src0_sel:WORD_1 src1_sel:DWORD
	s_waitcnt lgkmcnt(1)
	v_lshrrev_b32_e32 v49, 16, v22
	v_fma_f16 v18, v5, v21, v18
	v_mul_f16_sdwa v21, v5, v21 dst_sel:DWORD dst_unused:UNUSED_PAD src0_sel:WORD_1 src1_sel:DWORD
	v_fma_f16 v5, v5, v47, -v21
	v_mul_f16_sdwa v21, v0, v49 dst_sel:DWORD dst_unused:UNUSED_PAD src0_sel:WORD_1 src1_sel:DWORD
	v_lshrrev_b32_e32 v50, 16, v19
	v_fma_f16 v21, v0, v22, v21
	v_mul_f16_sdwa v22, v0, v22 dst_sel:DWORD dst_unused:UNUSED_PAD src0_sel:WORD_1 src1_sel:DWORD
	v_fma_f16 v0, v0, v49, -v22
	v_mul_f16_sdwa v22, v1, v50 dst_sel:DWORD dst_unused:UNUSED_PAD src0_sel:WORD_1 src1_sel:DWORD
	s_waitcnt lgkmcnt(0)
	v_lshrrev_b32_e32 v51, 16, v24
	v_fma_f16 v22, v1, v19, v22
	v_mul_f16_sdwa v19, v1, v19 dst_sel:DWORD dst_unused:UNUSED_PAD src0_sel:WORD_1 src1_sel:DWORD
	v_fma_f16 v1, v1, v50, -v19
	v_mul_f16_sdwa v19, v2, v51 dst_sel:DWORD dst_unused:UNUSED_PAD src0_sel:WORD_1 src1_sel:DWORD
	v_lshrrev_b32_e32 v53, 16, v23
	v_fma_f16 v19, v2, v24, v19
	v_mul_f16_sdwa v24, v2, v24 dst_sel:DWORD dst_unused:UNUSED_PAD src0_sel:WORD_1 src1_sel:DWORD
	v_fma_f16 v2, v2, v51, -v24
	v_mul_f16_sdwa v24, v6, v53 dst_sel:DWORD dst_unused:UNUSED_PAD src0_sel:WORD_1 src1_sel:DWORD
	;; [unrolled: 5-line block ×3, first 2 shown]
	v_lshrrev_b32_e32 v55, 16, v25
	v_fma_f16 v23, v7, v20, v23
	v_mul_f16_sdwa v20, v7, v20 dst_sel:DWORD dst_unused:UNUSED_PAD src0_sel:WORD_1 src1_sel:DWORD
	v_lshrrev_b32_e32 v29, 16, v14
	v_fma_f16 v7, v7, v54, -v20
	v_mul_f16_sdwa v20, v8, v55 dst_sel:DWORD dst_unused:UNUSED_PAD src0_sel:WORD_1 src1_sel:DWORD
	v_fma_f16 v20, v8, v25, v20
	v_mul_f16_sdwa v25, v8, v25 dst_sel:DWORD dst_unused:UNUSED_PAD src0_sel:WORD_1 src1_sel:DWORD
	v_sub_f16_e32 v17, v14, v17
	v_sub_f16_e32 v4, v29, v4
	;; [unrolled: 1-line block ×4, first 2 shown]
	v_lshrrev_b32_e32 v48, 16, v15
	v_fma_f16 v8, v8, v55, -v25
	v_fma_f16 v14, v14, 2.0, -v17
	v_fma_f16 v25, v29, 2.0, -v4
	;; [unrolled: 1-line block ×4, first 2 shown]
	v_sub_f16_e32 v29, v14, v29
	v_sub_f16_e32 v3, v25, v3
	v_add_f16_e32 v5, v17, v5
	v_sub_f16_e32 v18, v4, v18
	v_sub_f16_e32 v22, v15, v22
	;; [unrolled: 1-line block ×5, first 2 shown]
	v_lshrrev_b32_e32 v52, 16, v16
	v_fma_f16 v14, v14, 2.0, -v29
	v_fma_f16 v25, v25, 2.0, -v3
	;; [unrolled: 1-line block ×8, first 2 shown]
	v_sub_f16_e32 v21, v15, v21
	v_sub_f16_e32 v0, v30, v0
	v_add_f16_e32 v2, v22, v2
	v_sub_f16_e32 v19, v1, v19
	v_sub_f16_e32 v23, v16, v23
	;; [unrolled: 1-line block ×5, first 2 shown]
	v_pack_b32_f16 v14, v14, v25
	v_pack_b32_f16 v4, v17, v4
	v_fma_f16 v15, v15, 2.0, -v21
	v_fma_f16 v30, v30, 2.0, -v0
	v_fma_f16 v22, v22, 2.0, -v2
	v_fma_f16 v1, v1, 2.0, -v19
	v_fma_f16 v16, v16, 2.0, -v23
	v_fma_f16 v31, v52, 2.0, -v7
	v_fma_f16 v24, v24, 2.0, -v20
	v_fma_f16 v6, v6, 2.0, -v8
	s_waitcnt lgkmcnt(0)
	; wave barrier
	ds_write2_b32 v36, v14, v4 offset1:13
	v_pack_b32_f16 v3, v29, v3
	v_pack_b32_f16 v4, v5, v18
	v_sub_f16_e32 v24, v16, v24
	v_sub_f16_e32 v6, v31, v6
	v_add_f16_e32 v8, v23, v8
	v_sub_f16_e32 v20, v7, v20
	ds_write2_b32 v36, v3, v4 offset0:26 offset1:39
	v_pack_b32_f16 v3, v15, v30
	v_pack_b32_f16 v1, v22, v1
	v_fma_f16 v16, v16, 2.0, -v24
	v_fma_f16 v31, v31, 2.0, -v6
	;; [unrolled: 1-line block ×4, first 2 shown]
	ds_write2_b32 v37, v3, v1 offset1:13
	v_pack_b32_f16 v0, v21, v0
	v_pack_b32_f16 v1, v2, v19
	ds_write2_b32 v37, v0, v1 offset0:26 offset1:39
	v_pack_b32_f16 v0, v16, v31
	v_pack_b32_f16 v1, v23, v7
	ds_write2_b32 v38, v0, v1 offset1:13
	v_pack_b32_f16 v0, v24, v6
	v_pack_b32_f16 v1, v8, v20
	ds_write2_b32 v38, v0, v1 offset0:26 offset1:39
	s_waitcnt lgkmcnt(0)
	; wave barrier
	s_waitcnt lgkmcnt(0)
	ds_read2_b32 v[0:1], v33 offset1:26
	ds_read2_b32 v[2:3], v33 offset0:104 offset1:130
	ds_read2_b32 v[4:5], v33 offset0:208 offset1:234
	;; [unrolled: 1-line block ×5, first 2 shown]
	s_mov_b32 s0, 0xbaee
	s_waitcnt lgkmcnt(5)
	v_lshrrev_b32_e32 v8, 16, v0
	s_waitcnt lgkmcnt(4)
	v_lshrrev_b32_e32 v18, 16, v2
	v_mul_f16_sdwa v36, v10, v18 dst_sel:DWORD dst_unused:UNUSED_PAD src0_sel:WORD_1 src1_sel:DWORD
	s_waitcnt lgkmcnt(3)
	v_lshrrev_b32_e32 v19, 16, v4
	v_fma_f16 v36, v10, v2, v36
	v_mul_f16_sdwa v2, v10, v2 dst_sel:DWORD dst_unused:UNUSED_PAD src0_sel:WORD_1 src1_sel:DWORD
	v_fma_f16 v2, v10, v18, -v2
	v_mul_f16_sdwa v18, v11, v19 dst_sel:DWORD dst_unused:UNUSED_PAD src0_sel:WORD_1 src1_sel:DWORD
	v_lshrrev_b32_e32 v21, 16, v3
	v_fma_f16 v18, v11, v4, v18
	v_mul_f16_sdwa v4, v11, v4 dst_sel:DWORD dst_unused:UNUSED_PAD src0_sel:WORD_1 src1_sel:DWORD
	v_fma_f16 v4, v11, v19, -v4
	v_mul_f16_sdwa v19, v12, v21 dst_sel:DWORD dst_unused:UNUSED_PAD src0_sel:WORD_1 src1_sel:DWORD
	;; [unrolled: 5-line block ×3, first 2 shown]
	s_waitcnt lgkmcnt(1)
	v_lshrrev_b32_e32 v24, 16, v14
	v_fma_f16 v21, v13, v5, v21
	v_mul_f16_sdwa v5, v13, v5 dst_sel:DWORD dst_unused:UNUSED_PAD src0_sel:WORD_1 src1_sel:DWORD
	v_fma_f16 v5, v13, v22, -v5
	v_mul_f16_sdwa v22, v10, v24 dst_sel:DWORD dst_unused:UNUSED_PAD src0_sel:WORD_1 src1_sel:DWORD
	s_waitcnt lgkmcnt(0)
	v_lshrrev_b32_e32 v25, 16, v16
	v_fma_f16 v22, v10, v14, v22
	v_mul_f16_sdwa v14, v10, v14 dst_sel:DWORD dst_unused:UNUSED_PAD src0_sel:WORD_1 src1_sel:DWORD
	v_fma_f16 v10, v10, v24, -v14
	v_mul_f16_sdwa v14, v11, v25 dst_sel:DWORD dst_unused:UNUSED_PAD src0_sel:WORD_1 src1_sel:DWORD
	v_lshrrev_b32_e32 v30, 16, v15
	v_fma_f16 v14, v11, v16, v14
	v_mul_f16_sdwa v16, v11, v16 dst_sel:DWORD dst_unused:UNUSED_PAD src0_sel:WORD_1 src1_sel:DWORD
	v_fma_f16 v11, v11, v25, -v16
	v_mul_f16_sdwa v16, v12, v30 dst_sel:DWORD dst_unused:UNUSED_PAD src0_sel:WORD_1 src1_sel:DWORD
	;; [unrolled: 5-line block ×3, first 2 shown]
	v_fma_f16 v15, v13, v17, v15
	v_mul_f16_sdwa v17, v13, v17 dst_sel:DWORD dst_unused:UNUSED_PAD src0_sel:WORD_1 src1_sel:DWORD
	v_add_f16_e32 v24, v36, v18
	v_fma_f16 v13, v13, v31, -v17
	v_add_f16_e32 v17, v0, v36
	v_fma_f16 v0, v24, -0.5, v0
	v_sub_f16_e32 v24, v2, v4
	s_movk_i32 s1, 0x3aee
	v_fma_f16 v25, v24, s0, v0
	v_fma_f16 v0, v24, s1, v0
	v_add_f16_e32 v24, v8, v2
	v_add_f16_e32 v2, v2, v4
	;; [unrolled: 1-line block ×4, first 2 shown]
	v_fma_f16 v2, v2, -0.5, v8
	v_sub_f16_e32 v4, v36, v18
	v_add_f16_e32 v18, v19, v21
	v_lshrrev_b32_e32 v20, 16, v1
	v_fma_f16 v8, v4, s1, v2
	v_fma_f16 v2, v4, s0, v2
	v_add_f16_e32 v4, v1, v19
	v_fma_f16 v1, v18, -0.5, v1
	v_sub_f16_e32 v18, v3, v5
	v_fma_f16 v30, v18, s0, v1
	v_fma_f16 v1, v18, s1, v1
	v_add_f16_e32 v18, v20, v3
	v_add_f16_e32 v3, v3, v5
	;; [unrolled: 1-line block ×3, first 2 shown]
	v_fma_f16 v3, v3, -0.5, v20
	v_sub_f16_e32 v5, v19, v21
	v_add_f16_e32 v20, v22, v14
	v_lshrrev_b32_e32 v23, 16, v6
	v_fma_f16 v19, v5, s1, v3
	v_fma_f16 v3, v5, s0, v3
	v_add_f16_e32 v5, v6, v22
	v_fma_f16 v6, v20, -0.5, v6
	v_sub_f16_e32 v20, v10, v11
	v_add_f16_e32 v4, v4, v21
	v_fma_f16 v21, v20, s0, v6
	v_fma_f16 v6, v20, s1, v6
	v_add_f16_e32 v20, v23, v10
	v_add_f16_e32 v10, v10, v11
	;; [unrolled: 1-line block ×3, first 2 shown]
	v_fma_f16 v10, v10, -0.5, v23
	v_sub_f16_e32 v11, v22, v14
	v_add_f16_e32 v22, v16, v15
	v_lshrrev_b32_e32 v29, 16, v7
	v_add_f16_e32 v5, v5, v14
	v_fma_f16 v14, v11, s1, v10
	v_fma_f16 v10, v11, s0, v10
	v_add_f16_e32 v11, v7, v16
	v_fma_f16 v7, v22, -0.5, v7
	v_sub_f16_e32 v22, v12, v13
	v_fma_f16 v23, v22, s0, v7
	v_fma_f16 v7, v22, s1, v7
	v_add_f16_e32 v22, v29, v12
	v_add_f16_e32 v12, v12, v13
	;; [unrolled: 1-line block ×4, first 2 shown]
	v_fma_f16 v12, v12, -0.5, v29
	v_sub_f16_e32 v13, v16, v15
	v_pack_b32_f16 v0, v0, v2
	v_pack_b32_f16 v1, v1, v3
	v_fma_f16 v15, v13, s1, v12
	v_fma_f16 v12, v13, s0, v12
	s_waitcnt lgkmcnt(0)
	; wave barrier
	v_pack_b32_f16 v13, v17, v24
	v_pack_b32_f16 v2, v4, v18
	ds_write2_b32 v33, v0, v1 offset0:104 offset1:130
	v_pack_b32_f16 v0, v5, v20
	v_pack_b32_f16 v3, v11, v22
	;; [unrolled: 1-line block ×3, first 2 shown]
	ds_write2_b32 v33, v13, v2 offset1:26
	v_pack_b32_f16 v2, v30, v19
	v_pack_b32_f16 v1, v21, v14
	ds_write2_b32 v33, v0, v3 offset0:156 offset1:182
	v_pack_b32_f16 v0, v23, v15
	ds_write2_b32 v33, v8, v2 offset0:52 offset1:78
	;; [unrolled: 2-line block ×4, first 2 shown]
	s_waitcnt lgkmcnt(0)
	; wave barrier
	s_waitcnt lgkmcnt(0)
	ds_read2_b32 v[0:1], v33 offset1:26
	ds_read2_b32 v[2:3], v33 offset0:156 offset1:182
	ds_read2_b32 v[6:7], v33 offset0:208 offset1:234
	;; [unrolled: 1-line block ×5, first 2 shown]
	s_waitcnt lgkmcnt(5)
	v_lshrrev_b32_e32 v8, 16, v0
	s_waitcnt lgkmcnt(4)
	v_lshrrev_b32_e32 v14, 16, v2
	v_mul_f16_sdwa v25, v39, v14 dst_sel:DWORD dst_unused:UNUSED_PAD src0_sel:WORD_1 src1_sel:DWORD
	v_lshrrev_b32_e32 v16, 16, v3
	v_fma_f16 v25, v39, v2, v25
	v_mul_f16_sdwa v2, v39, v2 dst_sel:DWORD dst_unused:UNUSED_PAD src0_sel:WORD_1 src1_sel:DWORD
	v_fma_f16 v2, v39, v14, -v2
	v_mul_f16_sdwa v14, v40, v16 dst_sel:DWORD dst_unused:UNUSED_PAD src0_sel:WORD_1 src1_sel:DWORD
	s_waitcnt lgkmcnt(3)
	v_lshrrev_b32_e32 v18, 16, v6
	v_fma_f16 v14, v40, v3, v14
	v_mul_f16_sdwa v3, v40, v3 dst_sel:DWORD dst_unused:UNUSED_PAD src0_sel:WORD_1 src1_sel:DWORD
	v_fma_f16 v3, v40, v16, -v3
	v_mul_f16_sdwa v16, v41, v18 dst_sel:DWORD dst_unused:UNUSED_PAD src0_sel:WORD_1 src1_sel:DWORD
	v_lshrrev_b32_e32 v20, 16, v7
	v_fma_f16 v16, v41, v6, v16
	v_mul_f16_sdwa v6, v41, v6 dst_sel:DWORD dst_unused:UNUSED_PAD src0_sel:WORD_1 src1_sel:DWORD
	v_fma_f16 v6, v41, v18, -v6
	v_mul_f16_sdwa v18, v42, v20 dst_sel:DWORD dst_unused:UNUSED_PAD src0_sel:WORD_1 src1_sel:DWORD
	s_waitcnt lgkmcnt(0)
	v_lshrrev_b32_e32 v22, 16, v12
	v_fma_f16 v18, v42, v7, v18
	v_mul_f16_sdwa v7, v42, v7 dst_sel:DWORD dst_unused:UNUSED_PAD src0_sel:WORD_1 src1_sel:DWORD
	v_fma_f16 v7, v42, v20, -v7
	v_mul_f16_sdwa v20, v43, v22 dst_sel:DWORD dst_unused:UNUSED_PAD src0_sel:WORD_1 src1_sel:DWORD
	v_lshrrev_b32_e32 v24, 16, v13
	v_fma_f16 v20, v43, v12, v20
	v_mul_f16_sdwa v12, v43, v12 dst_sel:DWORD dst_unused:UNUSED_PAD src0_sel:WORD_1 src1_sel:DWORD
	v_fma_f16 v12, v43, v22, -v12
	v_mul_f16_sdwa v22, v44, v24 dst_sel:DWORD dst_unused:UNUSED_PAD src0_sel:WORD_1 src1_sel:DWORD
	v_lshrrev_b32_e32 v15, 16, v1
	v_fma_f16 v22, v44, v13, v22
	v_mul_f16_sdwa v13, v44, v13 dst_sel:DWORD dst_unused:UNUSED_PAD src0_sel:WORD_1 src1_sel:DWORD
	v_fma_f16 v13, v44, v24, -v13
	v_sub_f16_e32 v24, v0, v25
	v_sub_f16_e32 v2, v8, v2
	;; [unrolled: 1-line block ×4, first 2 shown]
	v_lshrrev_b32_e32 v17, 16, v4
	v_lshrrev_b32_e32 v19, 16, v5
	v_fma_f16 v0, v0, 2.0, -v24
	v_fma_f16 v8, v8, 2.0, -v2
	;; [unrolled: 1-line block ×4, first 2 shown]
	v_sub_f16_e32 v16, v4, v16
	v_sub_f16_e32 v6, v17, v6
	;; [unrolled: 1-line block ×4, first 2 shown]
	v_pack_b32_f16 v0, v0, v8
	v_pack_b32_f16 v1, v1, v15
	v_lshrrev_b32_e32 v21, 16, v10
	v_fma_f16 v4, v4, 2.0, -v16
	v_fma_f16 v17, v17, 2.0, -v6
	;; [unrolled: 1-line block ×4, first 2 shown]
	v_pack_b32_f16 v2, v24, v2
	ds_write2_b32 v35, v0, v1 offset1:26
	v_pack_b32_f16 v0, v14, v3
	v_sub_f16_e32 v20, v10, v20
	v_sub_f16_e32 v12, v21, v12
	ds_write2_b32 v35, v2, v0 offset0:156 offset1:182
	v_pack_b32_f16 v0, v4, v17
	v_pack_b32_f16 v2, v5, v19
	v_lshrrev_b32_e32 v23, 16, v11
	v_fma_f16 v10, v10, 2.0, -v20
	v_fma_f16 v21, v21, 2.0, -v12
	v_pack_b32_f16 v1, v16, v6
	ds_write2_b32 v35, v0, v2 offset0:52 offset1:78
	v_pack_b32_f16 v0, v18, v7
	v_sub_f16_e32 v22, v11, v22
	v_sub_f16_e32 v13, v23, v13
	ds_write2_b32 v35, v1, v0 offset0:208 offset1:234
	v_pack_b32_f16 v0, v10, v21
	v_fma_f16 v11, v11, 2.0, -v22
	v_fma_f16 v23, v23, 2.0, -v13
	ds_write_b32 v35, v0 offset:416
	v_pack_b32_f16 v0, v20, v12
	ds_write_b32 v46, v0 offset:624
	v_pack_b32_f16 v0, v11, v23
	;; [unrolled: 2-line block ×3, first 2 shown]
	ds_write_b32 v45, v0 offset:624
	s_waitcnt lgkmcnt(0)
	; wave barrier
	s_waitcnt lgkmcnt(0)
	s_and_b64 exec, exec, vcc
	s_cbranch_execz .LBB0_15
; %bb.14:
	global_load_dword v6, v27, s[6:7]
	global_load_dword v10, v27, s[6:7] offset:96
	ds_read_b32 v7, v35
	v_mad_u64_u32 v[0:1], s[0:1], s10, v9, 0
	v_mad_u64_u32 v[2:3], s[0:1], s8, v26, 0
	v_mov_b32_e32 v4, 0x7c00
	s_mov_b32 s14, 0x1a41a41a
	v_mad_u64_u32 v[18:19], s[0:1], s11, v9, v[1:2]
	s_waitcnt lgkmcnt(0)
	v_lshrrev_b32_e32 v1, 16, v7
	v_mad_u64_u32 v[19:20], s[0:1], s9, v26, v[3:4]
	s_mov_b32 s15, 0x3f6a41a4
	s_movk_i32 s18, 0x1ff
	v_mov_b32_e32 v3, v19
	s_movk_i32 s17, 0xffe
	v_lshl_add_u32 v5, v28, 2, v34
	global_load_dword v11, v27, s[6:7] offset:192
	global_load_dword v12, v27, s[6:7] offset:288
	;; [unrolled: 1-line block ×6, first 2 shown]
	ds_read2_b32 v[16:17], v5 offset0:24 offset1:48
	s_movk_i32 s16, 0x40f
	s_mov_b32 s10, 0x8000
	s_waitcnt vmcnt(7)
	v_mul_f16_sdwa v9, v1, v6 dst_sel:DWORD dst_unused:UNUSED_PAD src0_sel:DWORD src1_sel:WORD_1
	v_fma_f16 v9, v7, v6, v9
	v_mul_f16_sdwa v7, v7, v6 dst_sel:DWORD dst_unused:UNUSED_PAD src0_sel:DWORD src1_sel:WORD_1
	v_cvt_f32_f16_e32 v9, v9
	v_fma_f16 v1, v6, v1, -v7
	v_cvt_f32_f16_e32 v1, v1
	v_cvt_f64_f32_e32 v[6:7], v9
	s_waitcnt lgkmcnt(0)
	v_lshrrev_b32_e32 v9, 16, v16
	v_cvt_f64_f32_e32 v[20:21], v1
	v_mov_b32_e32 v1, v18
	v_mul_f64 v[6:7], v[6:7], s[14:15]
	v_lshlrev_b64 v[0:1], 2, v[0:1]
	v_mul_f64 v[18:19], v[20:21], s[14:15]
	s_waitcnt vmcnt(6)
	v_mul_f16_sdwa v20, v9, v10 dst_sel:DWORD dst_unused:UNUSED_PAD src0_sel:DWORD src1_sel:WORD_1
	v_fma_f16 v20, v16, v10, v20
	v_cvt_f32_f16_e32 v20, v20
	v_mul_f16_sdwa v16, v16, v10 dst_sel:DWORD dst_unused:UNUSED_PAD src0_sel:DWORD src1_sel:WORD_1
	v_fma_f16 v9, v10, v9, -v16
	v_and_or_b32 v6, v7, s18, v6
	v_cmp_ne_u32_e32 vcc, 0, v6
	v_and_or_b32 v18, v19, s18, v18
	v_lshrrev_b32_e32 v21, 8, v7
	v_bfe_u32 v22, v7, 20, 11
	v_cndmask_b32_e64 v6, 0, 1, vcc
	v_cmp_ne_u32_e32 vcc, 0, v18
	v_lshrrev_b32_e32 v23, 8, v19
	v_bfe_u32 v24, v19, 20, 11
	v_sub_u32_e32 v25, 0x3f1, v22
	v_cndmask_b32_e64 v18, 0, 1, vcc
	v_and_or_b32 v6, v21, s17, v6
	v_sub_u32_e32 v28, 0x3f1, v24
	v_med3_i32 v21, v25, 0, 13
	v_and_or_b32 v18, v23, s17, v18
	v_or_b32_e32 v25, 0x1000, v6
	v_add_u32_e32 v22, 0xfffffc10, v22
	v_med3_i32 v23, v28, 0, 13
	v_cmp_ne_u32_e32 vcc, 0, v6
	v_or_b32_e32 v29, 0x1000, v18
	v_lshrrev_b32_e32 v31, v21, v25
	v_add_u32_e32 v24, 0xfffffc10, v24
	v_lshl_or_b32 v28, v22, 12, v6
	v_cndmask_b32_e64 v6, 0, 1, vcc
	v_cmp_ne_u32_e32 vcc, 0, v18
	v_lshrrev_b32_e32 v32, v23, v29
	v_lshlrev_b32_e32 v21, v21, v31
	v_lshl_or_b32 v30, v24, 12, v18
	v_cndmask_b32_e64 v18, 0, 1, vcc
	v_lshlrev_b32_e32 v23, v23, v32
	v_cmp_ne_u32_e32 vcc, v21, v25
	v_cndmask_b32_e64 v21, 0, 1, vcc
	v_cmp_ne_u32_e32 vcc, v23, v29
	v_cndmask_b32_e64 v23, 0, 1, vcc
	v_or_b32_e32 v21, v31, v21
	v_cmp_gt_i32_e32 vcc, 1, v22
	v_cndmask_b32_e32 v21, v28, v21, vcc
	v_or_b32_e32 v23, v32, v23
	v_cmp_gt_i32_e32 vcc, 1, v24
	v_and_b32_e32 v25, 7, v21
	v_cndmask_b32_e32 v23, v30, v23, vcc
	v_cmp_lt_i32_e32 vcc, 5, v25
	v_cmp_eq_u32_e64 s[0:1], 3, v25
	v_lshrrev_b32_e32 v21, 2, v21
	v_and_b32_e32 v28, 7, v23
	s_or_b64 vcc, s[0:1], vcc
	v_cmp_lt_i32_e64 s[2:3], 5, v28
	v_cmp_eq_u32_e64 s[4:5], 3, v28
	v_addc_co_u32_e32 v21, vcc, 0, v21, vcc
	v_lshrrev_b32_e32 v23, 2, v23
	s_or_b64 vcc, s[4:5], s[2:3]
	v_addc_co_u32_e32 v23, vcc, 0, v23, vcc
	v_cmp_gt_i32_e32 vcc, 31, v22
	v_cndmask_b32_e32 v21, v4, v21, vcc
	v_cmp_gt_i32_e32 vcc, 31, v24
	v_lshl_or_b32 v6, v6, 9, v4
	v_cndmask_b32_e32 v23, v4, v23, vcc
	v_cmp_eq_u32_e32 vcc, s16, v22
	v_lshrrev_b32_e32 v7, 16, v7
	v_lshl_or_b32 v18, v18, 9, v4
	v_cndmask_b32_e32 v6, v21, v6, vcc
	v_cmp_eq_u32_e32 vcc, s16, v24
	v_lshrrev_b32_e32 v19, 16, v19
	v_cndmask_b32_e32 v18, v23, v18, vcc
	v_and_or_b32 v6, v7, s10, v6
	v_and_or_b32 v18, v19, s10, v18
	v_and_b32_e32 v19, 0xffff, v6
	v_cvt_f64_f32_e32 v[6:7], v20
	v_lshl_or_b32 v20, v18, 16, v19
	v_mov_b32_e32 v21, s13
	v_cvt_f32_f16_e32 v9, v9
	v_mul_f64 v[18:19], v[6:7], s[14:15]
	v_add_co_u32_e32 v6, vcc, s12, v0
	v_addc_co_u32_e32 v7, vcc, v21, v1, vcc
	v_lshlrev_b64 v[0:1], 2, v[2:3]
	s_mul_hi_u32 s2, s8, 0x60
	v_add_co_u32_e32 v0, vcc, v6, v0
	v_addc_co_u32_e32 v1, vcc, v7, v1, vcc
	v_and_or_b32 v2, v19, s18, v18
	v_cmp_ne_u32_e32 vcc, 0, v2
	v_cndmask_b32_e64 v2, 0, 1, vcc
	v_lshrrev_b32_e32 v3, 8, v19
	v_and_or_b32 v18, v3, s17, v2
	v_bfe_u32 v3, v19, 20, 11
	global_store_dword v[0:1], v20, off
	v_sub_u32_e32 v20, 0x3f1, v3
	v_or_b32_e32 v2, 0x1000, v18
	v_med3_i32 v20, v20, 0, 13
	v_lshrrev_b32_e32 v21, v20, v2
	v_lshlrev_b32_e32 v20, v20, v21
	v_cmp_ne_u32_e32 vcc, v20, v2
	v_cndmask_b32_e64 v2, 0, 1, vcc
	v_add_u32_e32 v20, 0xfffffc10, v3
	v_or_b32_e32 v2, v21, v2
	v_lshl_or_b32 v3, v20, 12, v18
	v_cmp_gt_i32_e32 vcc, 1, v20
	v_cndmask_b32_e32 v2, v3, v2, vcc
	v_and_b32_e32 v3, 7, v2
	v_cmp_lt_i32_e32 vcc, 5, v3
	v_cmp_eq_u32_e64 s[0:1], 3, v3
	v_lshrrev_b32_e32 v10, 2, v2
	v_cvt_f64_f32_e32 v[2:3], v9
	s_or_b64 vcc, s[0:1], vcc
	v_addc_co_u32_e32 v9, vcc, 0, v10, vcc
	v_mul_f64 v[2:3], v[2:3], s[14:15]
	v_cmp_gt_i32_e32 vcc, 31, v20
	v_cndmask_b32_e32 v9, v4, v9, vcc
	v_cmp_ne_u32_e32 vcc, 0, v18
	v_cndmask_b32_e64 v10, 0, 1, vcc
	v_lshl_or_b32 v10, v10, 9, v4
	v_cmp_eq_u32_e32 vcc, s16, v20
	v_cndmask_b32_e32 v9, v9, v10, vcc
	v_and_or_b32 v2, v3, s18, v2
	v_lshrrev_b32_e32 v10, 16, v19
	v_cmp_ne_u32_e32 vcc, 0, v2
	v_and_or_b32 v9, v10, s10, v9
	v_cndmask_b32_e64 v2, 0, 1, vcc
	v_lshrrev_b32_e32 v10, 8, v3
	v_bfe_u32 v16, v3, 20, 11
	v_and_or_b32 v2, v10, s17, v2
	v_sub_u32_e32 v18, 0x3f1, v16
	v_or_b32_e32 v10, 0x1000, v2
	v_med3_i32 v18, v18, 0, 13
	v_lshrrev_b32_e32 v19, v18, v10
	v_lshlrev_b32_e32 v18, v18, v19
	v_cmp_ne_u32_e32 vcc, v18, v10
	v_cndmask_b32_e64 v10, 0, 1, vcc
	v_add_u32_e32 v16, 0xfffffc10, v16
	v_or_b32_e32 v10, v19, v10
	v_lshl_or_b32 v18, v16, 12, v2
	v_cmp_gt_i32_e32 vcc, 1, v16
	v_cndmask_b32_e32 v10, v18, v10, vcc
	v_and_b32_e32 v18, 7, v10
	v_cmp_lt_i32_e32 vcc, 5, v18
	v_cmp_eq_u32_e64 s[0:1], 3, v18
	v_lshrrev_b32_e32 v10, 2, v10
	s_or_b64 vcc, s[0:1], vcc
	v_addc_co_u32_e32 v10, vcc, 0, v10, vcc
	v_cmp_gt_i32_e32 vcc, 31, v16
	v_cndmask_b32_e32 v10, v4, v10, vcc
	v_cmp_ne_u32_e32 vcc, 0, v2
	v_cndmask_b32_e64 v2, 0, 1, vcc
	v_lshl_or_b32 v2, v2, 9, v4
	v_cmp_eq_u32_e32 vcc, s16, v16
	v_cndmask_b32_e32 v2, v10, v2, vcc
	v_lshrrev_b32_e32 v10, 16, v17
	s_waitcnt vmcnt(6)
	v_mul_f16_sdwa v16, v10, v11 dst_sel:DWORD dst_unused:UNUSED_PAD src0_sel:DWORD src1_sel:WORD_1
	v_fma_f16 v16, v17, v11, v16
	v_cvt_f32_f16_e32 v16, v16
	v_lshrrev_b32_e32 v3, 16, v3
	v_and_or_b32 v2, v3, s10, v2
	v_and_b32_e32 v3, 0xffff, v9
	v_lshl_or_b32 v9, v2, 16, v3
	v_cvt_f64_f32_e32 v[2:3], v16
	s_mul_i32 s0, s9, 0x60
	s_add_i32 s2, s2, s0
	s_mul_i32 s3, s8, 0x60
	v_mul_f64 v[2:3], v[2:3], s[14:15]
	v_mov_b32_e32 v16, s2
	v_add_co_u32_e32 v0, vcc, s3, v0
	v_addc_co_u32_e32 v1, vcc, v1, v16, vcc
	global_store_dword v[0:1], v9, off
	v_mul_f16_sdwa v17, v17, v11 dst_sel:DWORD dst_unused:UNUSED_PAD src0_sel:DWORD src1_sel:WORD_1
	v_and_or_b32 v2, v3, s18, v2
	v_cmp_ne_u32_e32 vcc, 0, v2
	v_cndmask_b32_e64 v2, 0, 1, vcc
	v_lshrrev_b32_e32 v9, 8, v3
	v_bfe_u32 v16, v3, 20, 11
	v_and_or_b32 v2, v9, s17, v2
	v_sub_u32_e32 v18, 0x3f1, v16
	v_or_b32_e32 v9, 0x1000, v2
	v_med3_i32 v18, v18, 0, 13
	v_lshrrev_b32_e32 v19, v18, v9
	v_lshlrev_b32_e32 v18, v18, v19
	v_fma_f16 v10, v11, v10, -v17
	v_cmp_ne_u32_e32 vcc, v18, v9
	v_cvt_f32_f16_e32 v10, v10
	v_cndmask_b32_e64 v9, 0, 1, vcc
	v_add_u32_e32 v16, 0xfffffc10, v16
	v_or_b32_e32 v9, v19, v9
	v_lshl_or_b32 v18, v16, 12, v2
	v_cmp_gt_i32_e32 vcc, 1, v16
	v_cndmask_b32_e32 v9, v18, v9, vcc
	v_and_b32_e32 v18, 7, v9
	v_lshrrev_b32_e32 v11, 2, v9
	v_cvt_f64_f32_e32 v[9:10], v10
	v_cmp_lt_i32_e32 vcc, 5, v18
	v_cmp_eq_u32_e64 s[0:1], 3, v18
	s_or_b64 vcc, s[0:1], vcc
	v_mul_f64 v[9:10], v[9:10], s[14:15]
	v_addc_co_u32_e32 v11, vcc, 0, v11, vcc
	v_cmp_gt_i32_e32 vcc, 31, v16
	v_cndmask_b32_e32 v11, v4, v11, vcc
	v_cmp_ne_u32_e32 vcc, 0, v2
	v_cndmask_b32_e64 v2, 0, 1, vcc
	v_lshl_or_b32 v2, v2, 9, v4
	v_cmp_eq_u32_e32 vcc, s16, v16
	v_cndmask_b32_e32 v2, v11, v2, vcc
	v_lshrrev_b32_e32 v3, 16, v3
	v_and_or_b32 v11, v3, s10, v2
	v_and_or_b32 v2, v10, s18, v9
	v_cmp_ne_u32_e32 vcc, 0, v2
	v_cndmask_b32_e64 v2, 0, 1, vcc
	v_lshrrev_b32_e32 v3, 8, v10
	v_and_or_b32 v9, v3, s17, v2
	v_bfe_u32 v3, v10, 20, 11
	v_sub_u32_e32 v16, 0x3f1, v3
	v_or_b32_e32 v2, 0x1000, v9
	v_med3_i32 v16, v16, 0, 13
	v_lshrrev_b32_e32 v17, v16, v2
	v_lshlrev_b32_e32 v16, v16, v17
	v_cmp_ne_u32_e32 vcc, v16, v2
	v_cndmask_b32_e64 v2, 0, 1, vcc
	v_add_u32_e32 v16, 0xfffffc10, v3
	v_or_b32_e32 v2, v17, v2
	v_lshl_or_b32 v3, v16, 12, v9
	v_cmp_gt_i32_e32 vcc, 1, v16
	v_cndmask_b32_e32 v2, v3, v2, vcc
	v_and_b32_e32 v3, 7, v2
	v_cmp_lt_i32_e32 vcc, 5, v3
	v_cmp_eq_u32_e64 s[0:1], 3, v3
	v_lshrrev_b32_e32 v2, 2, v2
	s_or_b64 vcc, s[0:1], vcc
	v_addc_co_u32_e32 v17, vcc, 0, v2, vcc
	ds_read2_b32 v[2:3], v5 offset0:72 offset1:96
	v_cmp_gt_i32_e32 vcc, 31, v16
	v_cndmask_b32_e32 v17, v4, v17, vcc
	v_cmp_ne_u32_e32 vcc, 0, v9
	v_cndmask_b32_e64 v9, 0, 1, vcc
	s_waitcnt lgkmcnt(0)
	v_lshrrev_b32_e32 v18, 16, v2
	s_waitcnt vmcnt(6)
	v_mul_f16_sdwa v19, v18, v12 dst_sel:DWORD dst_unused:UNUSED_PAD src0_sel:DWORD src1_sel:WORD_1
	v_fma_f16 v19, v2, v12, v19
	v_cvt_f32_f16_e32 v19, v19
	v_lshl_or_b32 v9, v9, 9, v4
	v_cmp_eq_u32_e32 vcc, s16, v16
	v_cndmask_b32_e32 v9, v17, v9, vcc
	v_cvt_f64_f32_e32 v[16:17], v19
	v_lshrrev_b32_e32 v10, 16, v10
	v_and_or_b32 v19, v10, s10, v9
	v_add_co_u32_e32 v0, vcc, s3, v0
	v_mul_f64 v[9:10], v[16:17], s[14:15]
	v_mov_b32_e32 v16, s2
	v_and_b32_e32 v11, 0xffff, v11
	v_addc_co_u32_e32 v1, vcc, v1, v16, vcc
	v_lshl_or_b32 v11, v19, 16, v11
	global_store_dword v[0:1], v11, off
	v_mul_f16_sdwa v2, v2, v12 dst_sel:DWORD dst_unused:UNUSED_PAD src0_sel:DWORD src1_sel:WORD_1
	v_and_or_b32 v9, v10, s18, v9
	v_cmp_ne_u32_e32 vcc, 0, v9
	v_cndmask_b32_e64 v9, 0, 1, vcc
	v_lshrrev_b32_e32 v11, 8, v10
	v_bfe_u32 v16, v10, 20, 11
	v_and_or_b32 v9, v11, s17, v9
	v_sub_u32_e32 v17, 0x3f1, v16
	v_or_b32_e32 v11, 0x1000, v9
	v_med3_i32 v17, v17, 0, 13
	v_lshrrev_b32_e32 v19, v17, v11
	v_lshlrev_b32_e32 v17, v17, v19
	v_cmp_ne_u32_e32 vcc, v17, v11
	v_fma_f16 v2, v12, v18, -v2
	v_cndmask_b32_e64 v11, 0, 1, vcc
	v_add_u32_e32 v16, 0xfffffc10, v16
	v_cvt_f32_f16_e32 v2, v2
	v_or_b32_e32 v11, v19, v11
	v_lshl_or_b32 v17, v16, 12, v9
	v_cmp_gt_i32_e32 vcc, 1, v16
	v_cndmask_b32_e32 v11, v17, v11, vcc
	v_and_b32_e32 v17, 7, v11
	v_cmp_lt_i32_e32 vcc, 5, v17
	v_cmp_eq_u32_e64 s[0:1], 3, v17
	v_lshrrev_b32_e32 v17, 2, v11
	v_cvt_f64_f32_e32 v[11:12], v2
	s_or_b64 vcc, s[0:1], vcc
	v_addc_co_u32_e32 v2, vcc, 0, v17, vcc
	v_mul_f64 v[11:12], v[11:12], s[14:15]
	v_cmp_gt_i32_e32 vcc, 31, v16
	v_cndmask_b32_e32 v2, v4, v2, vcc
	v_cmp_ne_u32_e32 vcc, 0, v9
	v_cndmask_b32_e64 v9, 0, 1, vcc
	v_lshl_or_b32 v9, v9, 9, v4
	v_cmp_eq_u32_e32 vcc, s16, v16
	v_cndmask_b32_e32 v2, v2, v9, vcc
	v_lshrrev_b32_e32 v9, 16, v10
	v_and_or_b32 v2, v9, s10, v2
	v_and_or_b32 v9, v12, s18, v11
	v_cmp_ne_u32_e32 vcc, 0, v9
	v_cndmask_b32_e64 v9, 0, 1, vcc
	v_lshrrev_b32_e32 v10, 8, v12
	v_bfe_u32 v11, v12, 20, 11
	v_and_or_b32 v9, v10, s17, v9
	v_sub_u32_e32 v16, 0x3f1, v11
	v_or_b32_e32 v10, 0x1000, v9
	v_med3_i32 v16, v16, 0, 13
	v_lshrrev_b32_e32 v17, v16, v10
	v_lshlrev_b32_e32 v16, v16, v17
	v_cmp_ne_u32_e32 vcc, v16, v10
	v_cndmask_b32_e64 v10, 0, 1, vcc
	v_add_u32_e32 v11, 0xfffffc10, v11
	v_or_b32_e32 v10, v17, v10
	v_lshl_or_b32 v16, v11, 12, v9
	v_cmp_gt_i32_e32 vcc, 1, v11
	v_cndmask_b32_e32 v10, v16, v10, vcc
	v_and_b32_e32 v16, 7, v10
	v_cmp_lt_i32_e32 vcc, 5, v16
	v_cmp_eq_u32_e64 s[0:1], 3, v16
	v_lshrrev_b32_e32 v16, 16, v3
	v_lshrrev_b32_e32 v10, 2, v10
	s_or_b64 vcc, s[0:1], vcc
	s_waitcnt vmcnt(6)
	v_mul_f16_sdwa v17, v16, v13 dst_sel:DWORD dst_unused:UNUSED_PAD src0_sel:DWORD src1_sel:WORD_1
	v_addc_co_u32_e32 v10, vcc, 0, v10, vcc
	v_fma_f16 v17, v3, v13, v17
	v_cmp_gt_i32_e32 vcc, 31, v11
	v_cvt_f32_f16_e32 v17, v17
	v_cndmask_b32_e32 v10, v4, v10, vcc
	v_cmp_ne_u32_e32 vcc, 0, v9
	v_cndmask_b32_e64 v9, 0, 1, vcc
	v_lshl_or_b32 v9, v9, 9, v4
	v_cmp_eq_u32_e32 vcc, s16, v11
	v_cndmask_b32_e32 v11, v10, v9, vcc
	v_cvt_f64_f32_e32 v[9:10], v17
	v_lshrrev_b32_e32 v12, 16, v12
	v_and_or_b32 v11, v12, s10, v11
	v_and_b32_e32 v2, 0xffff, v2
	v_mul_f64 v[9:10], v[9:10], s[14:15]
	v_lshl_or_b32 v2, v11, 16, v2
	v_mov_b32_e32 v11, s2
	v_add_co_u32_e32 v0, vcc, s3, v0
	v_addc_co_u32_e32 v1, vcc, v1, v11, vcc
	global_store_dword v[0:1], v2, off
	v_and_or_b32 v2, v10, s18, v9
	v_cmp_ne_u32_e32 vcc, 0, v2
	v_cndmask_b32_e64 v2, 0, 1, vcc
	v_lshrrev_b32_e32 v9, 8, v10
	v_bfe_u32 v11, v10, 20, 11
	v_and_or_b32 v9, v9, s17, v2
	v_sub_u32_e32 v12, 0x3f1, v11
	v_or_b32_e32 v2, 0x1000, v9
	v_med3_i32 v12, v12, 0, 13
	v_lshrrev_b32_e32 v18, v12, v2
	v_lshlrev_b32_e32 v12, v12, v18
	v_mul_f16_sdwa v3, v3, v13 dst_sel:DWORD dst_unused:UNUSED_PAD src0_sel:DWORD src1_sel:WORD_1
	v_cmp_ne_u32_e32 vcc, v12, v2
	v_fma_f16 v3, v13, v16, -v3
	v_cndmask_b32_e64 v2, 0, 1, vcc
	v_add_u32_e32 v11, 0xfffffc10, v11
	v_cvt_f32_f16_e32 v3, v3
	v_or_b32_e32 v2, v18, v2
	v_lshl_or_b32 v12, v11, 12, v9
	v_cmp_gt_i32_e32 vcc, 1, v11
	v_cndmask_b32_e32 v2, v12, v2, vcc
	v_and_b32_e32 v12, 7, v2
	v_cmp_lt_i32_e32 vcc, 5, v12
	v_cmp_eq_u32_e64 s[0:1], 3, v12
	v_lshrrev_b32_e32 v12, 2, v2
	v_cvt_f64_f32_e32 v[2:3], v3
	s_or_b64 vcc, s[0:1], vcc
	v_addc_co_u32_e32 v12, vcc, 0, v12, vcc
	v_mul_f64 v[2:3], v[2:3], s[14:15]
	v_cmp_gt_i32_e32 vcc, 31, v11
	v_cndmask_b32_e32 v12, v4, v12, vcc
	v_cmp_ne_u32_e32 vcc, 0, v9
	v_cndmask_b32_e64 v9, 0, 1, vcc
	v_lshl_or_b32 v9, v9, 9, v4
	v_cmp_eq_u32_e32 vcc, s16, v11
	v_cndmask_b32_e32 v9, v12, v9, vcc
	v_and_or_b32 v2, v3, s18, v2
	v_lshrrev_b32_e32 v10, 16, v10
	v_cmp_ne_u32_e32 vcc, 0, v2
	v_and_or_b32 v13, v10, s10, v9
	v_cndmask_b32_e64 v2, 0, 1, vcc
	v_lshrrev_b32_e32 v9, 8, v3
	v_bfe_u32 v10, v3, 20, 11
	v_and_or_b32 v2, v9, s17, v2
	v_sub_u32_e32 v11, 0x3f1, v10
	v_or_b32_e32 v9, 0x1000, v2
	v_med3_i32 v11, v11, 0, 13
	v_lshrrev_b32_e32 v12, v11, v9
	v_lshlrev_b32_e32 v11, v11, v12
	v_cmp_ne_u32_e32 vcc, v11, v9
	v_cndmask_b32_e64 v9, 0, 1, vcc
	v_add_u32_e32 v16, 0xfffffc10, v10
	v_or_b32_e32 v9, v12, v9
	v_lshl_or_b32 v10, v16, 12, v2
	v_cmp_gt_i32_e32 vcc, 1, v16
	v_cndmask_b32_e32 v9, v10, v9, vcc
	v_and_b32_e32 v10, 7, v9
	v_cmp_lt_i32_e32 vcc, 5, v10
	v_cmp_eq_u32_e64 s[0:1], 3, v10
	v_lshrrev_b32_e32 v9, 2, v9
	s_or_b64 vcc, s[0:1], vcc
	v_addc_co_u32_e32 v9, vcc, 0, v9, vcc
	ds_read2_b32 v[11:12], v5 offset0:120 offset1:144
	v_or_b32_e32 v17, 0x60, v26
	v_cmp_gt_i32_e32 vcc, 31, v16
	v_cndmask_b32_e32 v18, v4, v9, vcc
	v_mad_u64_u32 v[9:10], s[0:1], s8, v17, 0
	v_cmp_ne_u32_e32 vcc, 0, v2
	v_cndmask_b32_e64 v2, 0, 1, vcc
	v_lshl_or_b32 v2, v2, 9, v4
	v_cmp_eq_u32_e32 vcc, s16, v16
	s_waitcnt lgkmcnt(0)
	v_lshrrev_b32_e32 v19, 16, v11
	v_cndmask_b32_e32 v18, v18, v2, vcc
	v_mov_b32_e32 v2, v10
	s_waitcnt vmcnt(6)
	v_mul_f16_sdwa v10, v19, v14 dst_sel:DWORD dst_unused:UNUSED_PAD src0_sel:DWORD src1_sel:WORD_1
	v_fma_f16 v10, v11, v14, v10
	v_cvt_f32_f16_e32 v10, v10
	v_mad_u64_u32 v[16:17], s[0:1], s9, v17, v[2:3]
	v_lshrrev_b32_e32 v17, 16, v3
	v_cvt_f64_f32_e32 v[2:3], v10
	v_mov_b32_e32 v10, v16
	v_lshlrev_b64 v[9:10], 2, v[9:10]
	v_and_or_b32 v17, v17, s10, v18
	v_mul_f64 v[2:3], v[2:3], s[14:15]
	v_add_co_u32_e32 v9, vcc, v6, v9
	v_and_b32_e32 v13, 0xffff, v13
	v_addc_co_u32_e32 v10, vcc, v7, v10, vcc
	v_lshl_or_b32 v13, v17, 16, v13
	global_store_dword v[9:10], v13, off
	v_and_or_b32 v2, v3, s18, v2
	v_cmp_ne_u32_e32 vcc, 0, v2
	v_cndmask_b32_e64 v2, 0, 1, vcc
	v_lshrrev_b32_e32 v9, 8, v3
	v_bfe_u32 v10, v3, 20, 11
	v_and_or_b32 v2, v9, s17, v2
	v_sub_u32_e32 v13, 0x3f1, v10
	v_or_b32_e32 v9, 0x1000, v2
	v_med3_i32 v13, v13, 0, 13
	v_lshrrev_b32_e32 v16, v13, v9
	v_lshlrev_b32_e32 v13, v13, v16
	v_mul_f16_sdwa v11, v11, v14 dst_sel:DWORD dst_unused:UNUSED_PAD src0_sel:DWORD src1_sel:WORD_1
	v_cmp_ne_u32_e32 vcc, v13, v9
	v_fma_f16 v11, v14, v19, -v11
	v_cndmask_b32_e64 v9, 0, 1, vcc
	v_add_u32_e32 v13, 0xfffffc10, v10
	v_cvt_f32_f16_e32 v11, v11
	v_or_b32_e32 v9, v16, v9
	v_lshl_or_b32 v10, v13, 12, v2
	v_cmp_gt_i32_e32 vcc, 1, v13
	v_cndmask_b32_e32 v9, v10, v9, vcc
	v_and_b32_e32 v10, 7, v9
	v_cmp_lt_i32_e32 vcc, 5, v10
	v_cmp_eq_u32_e64 s[0:1], 3, v10
	v_lshrrev_b32_e32 v14, 2, v9
	v_cvt_f64_f32_e32 v[9:10], v11
	s_or_b64 vcc, s[0:1], vcc
	v_addc_co_u32_e32 v11, vcc, 0, v14, vcc
	v_mul_f64 v[9:10], v[9:10], s[14:15]
	v_cmp_gt_i32_e32 vcc, 31, v13
	v_cndmask_b32_e32 v11, v4, v11, vcc
	v_cmp_ne_u32_e32 vcc, 0, v2
	v_cndmask_b32_e64 v2, 0, 1, vcc
	v_lshl_or_b32 v2, v2, 9, v4
	v_cmp_eq_u32_e32 vcc, s16, v13
	v_cndmask_b32_e32 v2, v11, v2, vcc
	v_lshrrev_b32_e32 v3, 16, v3
	v_and_or_b32 v3, v3, s10, v2
	v_and_or_b32 v2, v10, s18, v9
	v_cmp_ne_u32_e32 vcc, 0, v2
	v_cndmask_b32_e64 v2, 0, 1, vcc
	v_lshrrev_b32_e32 v9, 8, v10
	v_bfe_u32 v11, v10, 20, 11
	v_and_or_b32 v2, v9, s17, v2
	v_sub_u32_e32 v13, 0x3f1, v11
	v_or_b32_e32 v9, 0x1000, v2
	v_med3_i32 v13, v13, 0, 13
	v_lshrrev_b32_e32 v14, v13, v9
	v_lshlrev_b32_e32 v13, v13, v14
	v_cmp_ne_u32_e32 vcc, v13, v9
	v_cndmask_b32_e64 v9, 0, 1, vcc
	v_add_u32_e32 v11, 0xfffffc10, v11
	v_or_b32_e32 v9, v14, v9
	v_lshl_or_b32 v13, v11, 12, v2
	v_cmp_gt_i32_e32 vcc, 1, v11
	v_cndmask_b32_e32 v9, v13, v9, vcc
	v_and_b32_e32 v13, 7, v9
	v_lshrrev_b32_e32 v16, 16, v12
	v_cmp_lt_i32_e32 vcc, 5, v13
	v_cmp_eq_u32_e64 s[0:1], 3, v13
	s_waitcnt vmcnt(6)
	v_mul_f16_sdwa v13, v16, v15 dst_sel:DWORD dst_unused:UNUSED_PAD src0_sel:DWORD src1_sel:WORD_1
	v_fma_f16 v13, v12, v15, v13
	v_cvt_f32_f16_e32 v13, v13
	v_lshrrev_b32_e32 v9, 2, v9
	s_or_b64 vcc, s[0:1], vcc
	v_addc_co_u32_e32 v9, vcc, 0, v9, vcc
	v_cmp_gt_i32_e32 vcc, 31, v11
	v_cndmask_b32_e32 v9, v4, v9, vcc
	v_cmp_ne_u32_e32 vcc, 0, v2
	v_cvt_f64_f32_e32 v[13:14], v13
	v_cndmask_b32_e64 v2, 0, 1, vcc
	v_lshl_or_b32 v2, v2, 9, v4
	v_cmp_eq_u32_e32 vcc, s16, v11
	v_cndmask_b32_e32 v2, v9, v2, vcc
	v_lshrrev_b32_e32 v9, 16, v10
	v_and_or_b32 v11, v9, s10, v2
	v_mul_f64 v[9:10], v[13:14], s[14:15]
	v_mov_b32_e32 v2, 0xc0
	v_mad_u64_u32 v[13:14], s[0:1], s8, v2, v[0:1]
	v_and_b32_e32 v0, 0xffff, v3
	s_mul_i32 s4, s9, 0xc0
	v_lshl_or_b32 v0, v11, 16, v0
	v_add_u32_e32 v14, s4, v14
	global_store_dword v[13:14], v0, off
	v_and_or_b32 v0, v10, s18, v9
	v_cmp_ne_u32_e32 vcc, 0, v0
	v_cndmask_b32_e64 v0, 0, 1, vcc
	v_lshrrev_b32_e32 v1, 8, v10
	v_and_or_b32 v3, v1, s17, v0
	v_bfe_u32 v1, v10, 20, 11
	v_sub_u32_e32 v9, 0x3f1, v1
	v_or_b32_e32 v0, 0x1000, v3
	v_med3_i32 v9, v9, 0, 13
	v_lshrrev_b32_e32 v11, v9, v0
	v_lshlrev_b32_e32 v9, v9, v11
	v_cmp_ne_u32_e32 vcc, v9, v0
	v_cndmask_b32_e64 v0, 0, 1, vcc
	v_or_b32_e32 v0, v11, v0
	v_mul_f16_sdwa v11, v12, v15 dst_sel:DWORD dst_unused:UNUSED_PAD src0_sel:DWORD src1_sel:WORD_1
	v_fma_f16 v11, v15, v16, -v11
	v_add_u32_e32 v9, 0xfffffc10, v1
	v_cvt_f32_f16_e32 v11, v11
	v_lshl_or_b32 v1, v9, 12, v3
	v_cmp_gt_i32_e32 vcc, 1, v9
	v_cndmask_b32_e32 v0, v1, v0, vcc
	v_and_b32_e32 v1, 7, v0
	v_cmp_lt_i32_e32 vcc, 5, v1
	v_cmp_eq_u32_e64 s[0:1], 3, v1
	v_lshrrev_b32_e32 v12, 2, v0
	v_cvt_f64_f32_e32 v[0:1], v11
	s_or_b64 vcc, s[0:1], vcc
	v_addc_co_u32_e32 v11, vcc, 0, v12, vcc
	v_cmp_gt_i32_e32 vcc, 31, v9
	v_cndmask_b32_e32 v15, v4, v11, vcc
	v_mul_f64 v[11:12], v[0:1], s[14:15]
	v_cmp_ne_u32_e32 vcc, 0, v3
	v_cndmask_b32_e64 v0, 0, 1, vcc
	v_lshl_or_b32 v0, v0, 9, v4
	v_cmp_eq_u32_e32 vcc, s16, v9
	v_cndmask_b32_e32 v0, v15, v0, vcc
	v_lshrrev_b32_e32 v1, 16, v10
	v_and_or_b32 v3, v1, s10, v0
	v_and_or_b32 v0, v12, s18, v11
	v_cmp_ne_u32_e32 vcc, 0, v0
	v_cndmask_b32_e64 v0, 0, 1, vcc
	v_lshrrev_b32_e32 v1, 8, v12
	v_and_or_b32 v9, v1, s17, v0
	v_bfe_u32 v1, v12, 20, 11
	v_sub_u32_e32 v10, 0x3f1, v1
	v_or_b32_e32 v0, 0x1000, v9
	v_med3_i32 v10, v10, 0, 13
	v_lshrrev_b32_e32 v11, v10, v0
	v_lshlrev_b32_e32 v10, v10, v11
	v_cmp_ne_u32_e32 vcc, v10, v0
	v_cndmask_b32_e64 v0, 0, 1, vcc
	v_add_u32_e32 v10, 0xfffffc10, v1
	v_or_b32_e32 v0, v11, v0
	v_lshl_or_b32 v1, v10, 12, v9
	v_cmp_gt_i32_e32 vcc, 1, v10
	v_cndmask_b32_e32 v0, v1, v0, vcc
	v_and_b32_e32 v1, 7, v0
	v_cmp_lt_i32_e32 vcc, 5, v1
	v_cmp_eq_u32_e64 s[0:1], 3, v1
	v_lshrrev_b32_e32 v0, 2, v0
	s_or_b64 vcc, s[0:1], vcc
	v_addc_co_u32_e32 v11, vcc, 0, v0, vcc
	ds_read2_b32 v[0:1], v5 offset0:168 offset1:192
	v_cmp_gt_i32_e32 vcc, 31, v10
	v_cndmask_b32_e32 v11, v4, v11, vcc
	v_cmp_ne_u32_e32 vcc, 0, v9
	v_cndmask_b32_e64 v9, 0, 1, vcc
	s_waitcnt lgkmcnt(0)
	v_lshrrev_b32_e32 v15, 16, v0
	s_waitcnt vmcnt(6)
	v_mul_f16_sdwa v16, v15, v8 dst_sel:DWORD dst_unused:UNUSED_PAD src0_sel:DWORD src1_sel:WORD_1
	v_fma_f16 v16, v0, v8, v16
	v_cvt_f32_f16_e32 v16, v16
	v_lshl_or_b32 v9, v9, 9, v4
	v_cmp_eq_u32_e32 vcc, s16, v10
	v_cndmask_b32_e32 v11, v11, v9, vcc
	v_cvt_f64_f32_e32 v[9:10], v16
	global_load_dword v16, v27, s[6:7] offset:768
	v_lshrrev_b32_e32 v12, 16, v12
	v_and_or_b32 v11, v12, s10, v11
	v_mul_f64 v[9:10], v[9:10], s[14:15]
	v_and_b32_e32 v3, 0xffff, v3
	v_lshl_or_b32 v3, v11, 16, v3
	v_mov_b32_e32 v12, s2
	v_add_co_u32_e32 v11, vcc, s3, v13
	v_addc_co_u32_e32 v12, vcc, v14, v12, vcc
	global_store_dword v[11:12], v3, off
	v_and_or_b32 v3, v10, s18, v9
	v_cmp_ne_u32_e32 vcc, 0, v3
	v_cndmask_b32_e64 v3, 0, 1, vcc
	v_lshrrev_b32_e32 v9, 8, v10
	v_bfe_u32 v13, v10, 20, 11
	v_and_or_b32 v3, v9, s17, v3
	v_sub_u32_e32 v14, 0x3f1, v13
	v_or_b32_e32 v9, 0x1000, v3
	v_med3_i32 v14, v14, 0, 13
	v_lshrrev_b32_e32 v17, v14, v9
	v_lshlrev_b32_e32 v14, v14, v17
	v_mul_f16_sdwa v0, v0, v8 dst_sel:DWORD dst_unused:UNUSED_PAD src0_sel:DWORD src1_sel:WORD_1
	v_cmp_ne_u32_e32 vcc, v14, v9
	v_fma_f16 v0, v8, v15, -v0
	v_cndmask_b32_e64 v9, 0, 1, vcc
	v_add_u32_e32 v13, 0xfffffc10, v13
	v_cvt_f32_f16_e32 v0, v0
	v_or_b32_e32 v9, v17, v9
	v_lshl_or_b32 v14, v13, 12, v3
	v_cmp_gt_i32_e32 vcc, 1, v13
	v_cndmask_b32_e32 v9, v14, v9, vcc
	v_and_b32_e32 v14, 7, v9
	v_cmp_lt_i32_e32 vcc, 5, v14
	v_cmp_eq_u32_e64 s[0:1], 3, v14
	v_lshrrev_b32_e32 v14, 2, v9
	v_cvt_f64_f32_e32 v[8:9], v0
	s_or_b64 vcc, s[0:1], vcc
	v_addc_co_u32_e32 v0, vcc, 0, v14, vcc
	v_mul_f64 v[8:9], v[8:9], s[14:15]
	v_cmp_gt_i32_e32 vcc, 31, v13
	v_cndmask_b32_e32 v0, v4, v0, vcc
	v_cmp_ne_u32_e32 vcc, 0, v3
	v_cndmask_b32_e64 v3, 0, 1, vcc
	global_load_dword v17, v27, s[6:7] offset:864
	global_load_dword v18, v27, s[6:7] offset:960
	;; [unrolled: 1-line block ×4, first 2 shown]
	v_lshl_or_b32 v3, v3, 9, v4
	v_cmp_eq_u32_e32 vcc, s16, v13
	v_cndmask_b32_e32 v0, v0, v3, vcc
	v_lshrrev_b32_e32 v3, 16, v10
	v_and_or_b32 v0, v3, s10, v0
	v_and_or_b32 v3, v9, s18, v8
	v_cmp_ne_u32_e32 vcc, 0, v3
	v_cndmask_b32_e64 v3, 0, 1, vcc
	v_lshrrev_b32_e32 v8, 8, v9
	v_bfe_u32 v10, v9, 20, 11
	v_and_or_b32 v3, v8, s17, v3
	v_sub_u32_e32 v13, 0x3f1, v10
	v_or_b32_e32 v8, 0x1000, v3
	v_med3_i32 v13, v13, 0, 13
	v_lshrrev_b32_e32 v14, v13, v8
	v_lshlrev_b32_e32 v13, v13, v14
	v_cmp_ne_u32_e32 vcc, v13, v8
	v_cndmask_b32_e64 v8, 0, 1, vcc
	v_add_u32_e32 v10, 0xfffffc10, v10
	v_or_b32_e32 v8, v14, v8
	v_lshl_or_b32 v13, v10, 12, v3
	v_cmp_gt_i32_e32 vcc, 1, v10
	v_cndmask_b32_e32 v8, v13, v8, vcc
	v_and_b32_e32 v13, 7, v8
	v_cmp_lt_i32_e32 vcc, 5, v13
	v_cmp_eq_u32_e64 s[0:1], 3, v13
	v_lshrrev_b32_e32 v13, 16, v1
	v_lshrrev_b32_e32 v8, 2, v8
	s_or_b64 vcc, s[0:1], vcc
	v_addc_co_u32_e32 v8, vcc, 0, v8, vcc
	v_cmp_gt_i32_e32 vcc, 31, v10
	v_cndmask_b32_e32 v8, v4, v8, vcc
	s_waitcnt vmcnt(5)
	v_mul_f16_sdwa v14, v13, v16 dst_sel:DWORD dst_unused:UNUSED_PAD src0_sel:DWORD src1_sel:WORD_1
	v_fma_f16 v14, v1, v16, v14
	v_cvt_f32_f16_e32 v14, v14
	v_cmp_ne_u32_e32 vcc, 0, v3
	v_cndmask_b32_e64 v3, 0, 1, vcc
	v_lshl_or_b32 v3, v3, 9, v4
	v_cmp_eq_u32_e32 vcc, s16, v10
	v_cndmask_b32_e32 v3, v8, v3, vcc
	v_lshrrev_b32_e32 v10, 16, v9
	v_cvt_f64_f32_e32 v[8:9], v14
	v_and_or_b32 v3, v10, s10, v3
	v_and_b32_e32 v0, 0xffff, v0
	v_lshl_or_b32 v0, v3, 16, v0
	v_mul_f64 v[8:9], v[8:9], s[14:15]
	v_mov_b32_e32 v3, s2
	v_add_co_u32_e32 v10, vcc, s3, v11
	v_addc_co_u32_e32 v11, vcc, v12, v3, vcc
	global_store_dword v[10:11], v0, off
	v_mul_f16_sdwa v1, v1, v16 dst_sel:DWORD dst_unused:UNUSED_PAD src0_sel:DWORD src1_sel:WORD_1
	v_and_or_b32 v0, v9, s18, v8
	v_cmp_ne_u32_e32 vcc, 0, v0
	v_cndmask_b32_e64 v0, 0, 1, vcc
	v_lshrrev_b32_e32 v8, 8, v9
	v_bfe_u32 v12, v9, 20, 11
	v_and_or_b32 v8, v8, s17, v0
	v_sub_u32_e32 v14, 0x3f1, v12
	v_or_b32_e32 v0, 0x1000, v8
	v_med3_i32 v14, v14, 0, 13
	v_lshrrev_b32_e32 v15, v14, v0
	v_lshlrev_b32_e32 v14, v14, v15
	v_fma_f16 v1, v16, v13, -v1
	v_cmp_ne_u32_e32 vcc, v14, v0
	v_cvt_f32_f16_e32 v1, v1
	v_cndmask_b32_e64 v0, 0, 1, vcc
	v_add_u32_e32 v12, 0xfffffc10, v12
	v_or_b32_e32 v0, v15, v0
	v_lshl_or_b32 v14, v12, 12, v8
	v_cmp_gt_i32_e32 vcc, 1, v12
	v_cndmask_b32_e32 v0, v14, v0, vcc
	v_and_b32_e32 v14, 7, v0
	v_lshrrev_b32_e32 v13, 2, v0
	v_cvt_f64_f32_e32 v[0:1], v1
	v_cmp_lt_i32_e32 vcc, 5, v14
	v_cmp_eq_u32_e64 s[0:1], 3, v14
	s_or_b64 vcc, s[0:1], vcc
	v_mul_f64 v[0:1], v[0:1], s[14:15]
	v_addc_co_u32_e32 v13, vcc, 0, v13, vcc
	v_cmp_gt_i32_e32 vcc, 31, v12
	v_cndmask_b32_e32 v13, v4, v13, vcc
	v_cmp_ne_u32_e32 vcc, 0, v8
	v_cndmask_b32_e64 v8, 0, 1, vcc
	v_lshl_or_b32 v8, v8, 9, v4
	v_cmp_eq_u32_e32 vcc, s16, v12
	v_and_or_b32 v0, v1, s18, v0
	v_cndmask_b32_e32 v8, v13, v8, vcc
	v_lshrrev_b32_e32 v9, 16, v9
	v_cmp_ne_u32_e32 vcc, 0, v0
	v_and_or_b32 v16, v9, s10, v8
	v_cndmask_b32_e64 v0, 0, 1, vcc
	v_lshrrev_b32_e32 v8, 8, v1
	v_bfe_u32 v9, v1, 20, 11
	v_and_or_b32 v0, v8, s17, v0
	v_sub_u32_e32 v12, 0x3f1, v9
	v_or_b32_e32 v8, 0x1000, v0
	v_med3_i32 v12, v12, 0, 13
	v_lshrrev_b32_e32 v13, v12, v8
	v_lshlrev_b32_e32 v12, v12, v13
	v_cmp_ne_u32_e32 vcc, v12, v8
	v_cndmask_b32_e64 v8, 0, 1, vcc
	v_add_u32_e32 v14, 0xfffffc10, v9
	v_or_b32_e32 v8, v13, v8
	v_lshl_or_b32 v9, v14, 12, v0
	v_cmp_gt_i32_e32 vcc, 1, v14
	v_cndmask_b32_e32 v8, v9, v8, vcc
	v_and_b32_e32 v9, 7, v8
	v_cmp_lt_i32_e32 vcc, 5, v9
	v_cmp_eq_u32_e64 s[0:1], 3, v9
	v_lshrrev_b32_e32 v8, 2, v8
	s_or_b64 vcc, s[0:1], vcc
	v_addc_co_u32_e32 v8, vcc, 0, v8, vcc
	ds_read2_b32 v[12:13], v5 offset0:216 offset1:240
	v_or_b32_e32 v3, 0xc0, v26
	v_cmp_gt_i32_e32 vcc, 31, v14
	v_cndmask_b32_e32 v15, v4, v8, vcc
	v_mad_u64_u32 v[8:9], s[0:1], s8, v3, 0
	v_cmp_ne_u32_e32 vcc, 0, v0
	v_cndmask_b32_e64 v0, 0, 1, vcc
	v_lshl_or_b32 v0, v0, 9, v4
	v_cmp_eq_u32_e32 vcc, s16, v14
	s_waitcnt lgkmcnt(0)
	v_lshrrev_b32_e32 v22, 16, v12
	v_cndmask_b32_e32 v21, v15, v0, vcc
	v_mov_b32_e32 v0, v9
	s_waitcnt vmcnt(4)
	v_mul_f16_sdwa v9, v22, v17 dst_sel:DWORD dst_unused:UNUSED_PAD src0_sel:DWORD src1_sel:WORD_1
	v_fma_f16 v9, v12, v17, v9
	v_cvt_f32_f16_e32 v9, v9
	v_mad_u64_u32 v[14:15], s[0:1], s9, v3, v[0:1]
	v_lshrrev_b32_e32 v3, 16, v1
	v_cvt_f64_f32_e32 v[0:1], v9
	v_mov_b32_e32 v9, v14
	v_lshlrev_b64 v[8:9], 2, v[8:9]
	v_and_or_b32 v3, v3, s10, v21
	v_mul_f64 v[0:1], v[0:1], s[14:15]
	v_add_co_u32_e32 v8, vcc, v6, v8
	v_and_b32_e32 v14, 0xffff, v16
	v_addc_co_u32_e32 v9, vcc, v7, v9, vcc
	v_lshl_or_b32 v3, v3, 16, v14
	global_store_dword v[8:9], v3, off
	v_and_or_b32 v0, v1, s18, v0
	v_cmp_ne_u32_e32 vcc, 0, v0
	v_cndmask_b32_e64 v0, 0, 1, vcc
	v_lshrrev_b32_e32 v3, 8, v1
	v_bfe_u32 v8, v1, 20, 11
	v_and_or_b32 v0, v3, s17, v0
	v_sub_u32_e32 v9, 0x3f1, v8
	v_or_b32_e32 v3, 0x1000, v0
	v_med3_i32 v9, v9, 0, 13
	v_lshrrev_b32_e32 v14, v9, v3
	v_lshlrev_b32_e32 v9, v9, v14
	v_cmp_ne_u32_e32 vcc, v9, v3
	v_mul_f16_sdwa v9, v12, v17 dst_sel:DWORD dst_unused:UNUSED_PAD src0_sel:DWORD src1_sel:WORD_1
	v_cndmask_b32_e64 v3, 0, 1, vcc
	v_fma_f16 v9, v17, v22, -v9
	v_or_b32_e32 v3, v14, v3
	v_add_u32_e32 v14, 0xfffffc10, v8
	v_cvt_f32_f16_e32 v9, v9
	v_lshl_or_b32 v8, v14, 12, v0
	v_cmp_gt_i32_e32 vcc, 1, v14
	v_cndmask_b32_e32 v3, v8, v3, vcc
	v_and_b32_e32 v8, 7, v3
	v_cmp_lt_i32_e32 vcc, 5, v8
	v_cmp_eq_u32_e64 s[0:1], 3, v8
	v_cvt_f64_f32_e32 v[8:9], v9
	v_lshrrev_b32_e32 v3, 2, v3
	s_or_b64 vcc, s[0:1], vcc
	v_addc_co_u32_e32 v3, vcc, 0, v3, vcc
	v_mul_f64 v[8:9], v[8:9], s[14:15]
	v_cmp_gt_i32_e32 vcc, 31, v14
	v_cndmask_b32_e32 v3, v4, v3, vcc
	v_cmp_ne_u32_e32 vcc, 0, v0
	v_cndmask_b32_e64 v0, 0, 1, vcc
	v_lshl_or_b32 v0, v0, 9, v4
	v_cmp_eq_u32_e32 vcc, s16, v14
	v_cndmask_b32_e32 v0, v3, v0, vcc
	v_lshrrev_b32_e32 v1, 16, v1
	v_and_or_b32 v12, v1, s10, v0
	v_and_or_b32 v0, v9, s18, v8
	v_cmp_ne_u32_e32 vcc, 0, v0
	v_cndmask_b32_e64 v0, 0, 1, vcc
	v_lshrrev_b32_e32 v1, 8, v9
	v_bfe_u32 v3, v9, 20, 11
	v_and_or_b32 v0, v1, s17, v0
	v_sub_u32_e32 v8, 0x3f1, v3
	v_or_b32_e32 v1, 0x1000, v0
	v_med3_i32 v8, v8, 0, 13
	v_lshrrev_b32_e32 v14, v8, v1
	v_lshlrev_b32_e32 v8, v8, v14
	v_cmp_ne_u32_e32 vcc, v8, v1
	v_cndmask_b32_e64 v1, 0, 1, vcc
	v_add_u32_e32 v3, 0xfffffc10, v3
	v_or_b32_e32 v1, v14, v1
	v_lshl_or_b32 v8, v3, 12, v0
	v_cmp_gt_i32_e32 vcc, 1, v3
	v_cndmask_b32_e32 v1, v8, v1, vcc
	v_and_b32_e32 v8, 7, v1
	v_cmp_lt_i32_e32 vcc, 5, v8
	v_cmp_eq_u32_e64 s[0:1], 3, v8
	v_lshrrev_b32_e32 v1, 2, v1
	s_or_b64 vcc, s[0:1], vcc
	v_addc_co_u32_e32 v1, vcc, 0, v1, vcc
	v_cmp_gt_i32_e32 vcc, 31, v3
	v_lshrrev_b32_e32 v14, 16, v13
	v_cndmask_b32_e32 v8, v4, v1, vcc
	s_waitcnt vmcnt(4)
	v_mul_f16_sdwa v1, v14, v18 dst_sel:DWORD dst_unused:UNUSED_PAD src0_sel:DWORD src1_sel:WORD_1
	v_fma_f16 v1, v13, v18, v1
	v_cvt_f32_f16_e32 v1, v1
	v_cmp_ne_u32_e32 vcc, 0, v0
	v_cndmask_b32_e64 v0, 0, 1, vcc
	v_lshl_or_b32 v15, v0, 9, v4
	v_cvt_f64_f32_e32 v[0:1], v1
	v_cmp_eq_u32_e32 vcc, s16, v3
	v_mad_u64_u32 v[2:3], s[0:1], s8, v2, v[10:11]
	v_mul_f64 v[0:1], v[0:1], s[14:15]
	v_cndmask_b32_e32 v8, v8, v15, vcc
	v_lshrrev_b32_e32 v9, 16, v9
	v_and_or_b32 v8, v9, s10, v8
	v_and_b32_e32 v9, 0xffff, v12
	v_lshl_or_b32 v8, v8, 16, v9
	v_add_u32_e32 v3, s4, v3
	global_store_dword v[2:3], v8, off
	v_and_or_b32 v0, v1, s18, v0
	v_cmp_ne_u32_e32 vcc, 0, v0
	v_cndmask_b32_e64 v0, 0, 1, vcc
	v_lshrrev_b32_e32 v8, 8, v1
	v_bfe_u32 v9, v1, 20, 11
	v_and_or_b32 v0, v8, s17, v0
	v_sub_u32_e32 v10, 0x3f1, v9
	v_or_b32_e32 v8, 0x1000, v0
	v_med3_i32 v10, v10, 0, 13
	v_lshrrev_b32_e32 v11, v10, v8
	v_lshlrev_b32_e32 v10, v10, v11
	v_cmp_ne_u32_e32 vcc, v10, v8
	v_cndmask_b32_e64 v8, 0, 1, vcc
	v_or_b32_e32 v8, v11, v8
	v_mul_f16_sdwa v11, v13, v18 dst_sel:DWORD dst_unused:UNUSED_PAD src0_sel:DWORD src1_sel:WORD_1
	v_fma_f16 v11, v18, v14, -v11
	v_add_u32_e32 v10, 0xfffffc10, v9
	v_cvt_f32_f16_e32 v11, v11
	v_lshl_or_b32 v9, v10, 12, v0
	v_cmp_gt_i32_e32 vcc, 1, v10
	v_cndmask_b32_e32 v8, v9, v8, vcc
	v_and_b32_e32 v9, 7, v8
	v_cmp_lt_i32_e32 vcc, 5, v9
	v_cmp_eq_u32_e64 s[0:1], 3, v9
	v_lshrrev_b32_e32 v12, 2, v8
	v_cvt_f64_f32_e32 v[8:9], v11
	s_or_b64 vcc, s[0:1], vcc
	v_addc_co_u32_e32 v11, vcc, 0, v12, vcc
	v_mul_f64 v[8:9], v[8:9], s[14:15]
	v_cmp_gt_i32_e32 vcc, 31, v10
	v_cndmask_b32_e32 v11, v4, v11, vcc
	v_cmp_ne_u32_e32 vcc, 0, v0
	v_cndmask_b32_e64 v0, 0, 1, vcc
	v_lshl_or_b32 v0, v0, 9, v4
	v_cmp_eq_u32_e32 vcc, s16, v10
	v_cndmask_b32_e32 v0, v11, v0, vcc
	v_lshrrev_b32_e32 v1, 16, v1
	v_and_or_b32 v12, v1, s10, v0
	v_and_or_b32 v0, v9, s18, v8
	v_cmp_ne_u32_e32 vcc, 0, v0
	v_cndmask_b32_e64 v0, 0, 1, vcc
	v_lshrrev_b32_e32 v1, 8, v9
	v_and_or_b32 v8, v1, s17, v0
	v_bfe_u32 v1, v9, 20, 11
	v_sub_u32_e32 v10, 0x3f1, v1
	v_or_b32_e32 v0, 0x1000, v8
	v_med3_i32 v10, v10, 0, 13
	v_lshrrev_b32_e32 v11, v10, v0
	v_lshlrev_b32_e32 v10, v10, v11
	v_cmp_ne_u32_e32 vcc, v10, v0
	v_cndmask_b32_e64 v0, 0, 1, vcc
	v_add_u32_e32 v10, 0xfffffc10, v1
	v_or_b32_e32 v0, v11, v0
	v_lshl_or_b32 v1, v10, 12, v8
	v_cmp_gt_i32_e32 vcc, 1, v10
	v_cndmask_b32_e32 v0, v1, v0, vcc
	v_and_b32_e32 v1, 7, v0
	v_cmp_lt_i32_e32 vcc, 5, v1
	v_cmp_eq_u32_e64 s[0:1], 3, v1
	v_lshrrev_b32_e32 v0, 2, v0
	s_or_b64 vcc, s[0:1], vcc
	v_addc_co_u32_e32 v11, vcc, 0, v0, vcc
	v_add_u32_e32 v0, 0x400, v5
	ds_read2_b32 v[0:1], v0 offset0:8 offset1:32
	v_cmp_gt_i32_e32 vcc, 31, v10
	v_cndmask_b32_e32 v5, v4, v11, vcc
	v_cmp_ne_u32_e32 vcc, 0, v8
	v_cndmask_b32_e64 v8, 0, 1, vcc
	s_waitcnt lgkmcnt(0)
	v_lshrrev_b32_e32 v13, 16, v0
	s_waitcnt vmcnt(4)
	v_mul_f16_sdwa v11, v13, v19 dst_sel:DWORD dst_unused:UNUSED_PAD src0_sel:DWORD src1_sel:WORD_1
	v_fma_f16 v11, v0, v19, v11
	v_cvt_f32_f16_e32 v11, v11
	v_cmp_eq_u32_e32 vcc, s16, v10
	v_lshl_or_b32 v8, v8, 9, v4
	v_cndmask_b32_e32 v5, v5, v8, vcc
	v_cvt_f64_f32_e32 v[10:11], v11
	v_lshrrev_b32_e32 v8, 16, v9
	v_and_or_b32 v5, v8, s10, v5
	v_and_b32_e32 v12, 0xffff, v12
	v_mul_f64 v[8:9], v[10:11], s[14:15]
	v_mov_b32_e32 v10, s2
	v_add_co_u32_e32 v2, vcc, s3, v2
	v_lshl_or_b32 v5, v5, 16, v12
	v_addc_co_u32_e32 v3, vcc, v3, v10, vcc
	global_store_dword v[2:3], v5, off
	v_and_or_b32 v5, v9, s18, v8
	v_cmp_ne_u32_e32 vcc, 0, v5
	v_cndmask_b32_e64 v5, 0, 1, vcc
	v_lshrrev_b32_e32 v8, 8, v9
	v_bfe_u32 v10, v9, 20, 11
	v_and_or_b32 v5, v8, s17, v5
	v_sub_u32_e32 v11, 0x3f1, v10
	v_or_b32_e32 v8, 0x1000, v5
	v_med3_i32 v11, v11, 0, 13
	v_lshrrev_b32_e32 v12, v11, v8
	v_lshlrev_b32_e32 v11, v11, v12
	v_cmp_ne_u32_e32 vcc, v11, v8
	v_mul_f16_sdwa v0, v0, v19 dst_sel:DWORD dst_unused:UNUSED_PAD src0_sel:DWORD src1_sel:WORD_1
	v_cndmask_b32_e64 v8, 0, 1, vcc
	v_fma_f16 v0, v19, v13, -v0
	v_or_b32_e32 v8, v12, v8
	v_add_u32_e32 v12, 0xfffffc10, v10
	v_cvt_f32_f16_e32 v0, v0
	v_lshl_or_b32 v10, v12, 12, v5
	v_cmp_gt_i32_e32 vcc, 1, v12
	v_cndmask_b32_e32 v8, v10, v8, vcc
	v_and_b32_e32 v10, 7, v8
	v_cmp_lt_i32_e32 vcc, 5, v10
	v_cmp_eq_u32_e64 s[0:1], 3, v10
	v_cvt_f64_f32_e32 v[10:11], v0
	v_lshrrev_b32_e32 v8, 2, v8
	s_or_b64 vcc, s[0:1], vcc
	v_addc_co_u32_e32 v0, vcc, 0, v8, vcc
	v_mul_f64 v[10:11], v[10:11], s[14:15]
	v_cmp_gt_i32_e32 vcc, 31, v12
	v_cndmask_b32_e32 v0, v4, v0, vcc
	v_cmp_ne_u32_e32 vcc, 0, v5
	v_cndmask_b32_e64 v5, 0, 1, vcc
	v_lshl_or_b32 v5, v5, 9, v4
	v_cmp_eq_u32_e32 vcc, s16, v12
	v_cndmask_b32_e32 v0, v0, v5, vcc
	v_lshrrev_b32_e32 v5, 16, v9
	v_and_or_b32 v0, v5, s10, v0
	v_and_or_b32 v5, v11, s18, v10
	v_cmp_ne_u32_e32 vcc, 0, v5
	v_cndmask_b32_e64 v5, 0, 1, vcc
	v_lshrrev_b32_e32 v8, 8, v11
	v_bfe_u32 v9, v11, 20, 11
	v_and_or_b32 v5, v8, s17, v5
	v_sub_u32_e32 v10, 0x3f1, v9
	v_or_b32_e32 v8, 0x1000, v5
	v_med3_i32 v10, v10, 0, 13
	v_lshrrev_b32_e32 v12, v10, v8
	v_lshlrev_b32_e32 v10, v10, v12
	v_cmp_ne_u32_e32 vcc, v10, v8
	v_cndmask_b32_e64 v8, 0, 1, vcc
	v_add_u32_e32 v9, 0xfffffc10, v9
	v_or_b32_e32 v8, v12, v8
	v_lshl_or_b32 v10, v9, 12, v5
	v_cmp_gt_i32_e32 vcc, 1, v9
	v_cndmask_b32_e32 v8, v10, v8, vcc
	v_and_b32_e32 v10, 7, v8
	v_cmp_lt_i32_e32 vcc, 5, v10
	v_cmp_eq_u32_e64 s[0:1], 3, v10
	v_lshrrev_b32_e32 v10, 16, v1
	v_lshrrev_b32_e32 v8, 2, v8
	s_or_b64 vcc, s[0:1], vcc
	s_waitcnt vmcnt(4)
	v_mul_f16_sdwa v12, v10, v20 dst_sel:DWORD dst_unused:UNUSED_PAD src0_sel:DWORD src1_sel:WORD_1
	v_addc_co_u32_e32 v8, vcc, 0, v8, vcc
	v_fma_f16 v12, v1, v20, v12
	v_cmp_gt_i32_e32 vcc, 31, v9
	v_cvt_f32_f16_e32 v12, v12
	v_cndmask_b32_e32 v8, v4, v8, vcc
	v_cmp_ne_u32_e32 vcc, 0, v5
	v_cndmask_b32_e64 v5, 0, 1, vcc
	v_lshl_or_b32 v5, v5, 9, v4
	v_cmp_eq_u32_e32 vcc, s16, v9
	v_cndmask_b32_e32 v5, v8, v5, vcc
	v_cvt_f64_f32_e32 v[8:9], v12
	v_lshrrev_b32_e32 v11, 16, v11
	v_and_or_b32 v5, v11, s10, v5
	v_and_b32_e32 v0, 0xffff, v0
	v_mul_f64 v[8:9], v[8:9], s[14:15]
	v_lshl_or_b32 v0, v5, 16, v0
	v_mov_b32_e32 v5, s2
	v_add_co_u32_e32 v2, vcc, s3, v2
	v_addc_co_u32_e32 v3, vcc, v3, v5, vcc
	global_store_dword v[2:3], v0, off
	v_and_or_b32 v0, v9, s18, v8
	v_cmp_ne_u32_e32 vcc, 0, v0
	v_cndmask_b32_e64 v0, 0, 1, vcc
	v_lshrrev_b32_e32 v2, 8, v9
	v_bfe_u32 v3, v9, 20, 11
	v_and_or_b32 v2, v2, s17, v0
	v_sub_u32_e32 v8, 0x3f1, v3
	v_or_b32_e32 v0, 0x1000, v2
	v_med3_i32 v8, v8, 0, 13
	v_lshrrev_b32_e32 v11, v8, v0
	v_lshlrev_b32_e32 v8, v8, v11
	v_mul_f16_sdwa v1, v1, v20 dst_sel:DWORD dst_unused:UNUSED_PAD src0_sel:DWORD src1_sel:WORD_1
	v_cmp_ne_u32_e32 vcc, v8, v0
	v_fma_f16 v1, v20, v10, -v1
	v_cndmask_b32_e64 v0, 0, 1, vcc
	v_add_u32_e32 v3, 0xfffffc10, v3
	v_cvt_f32_f16_e32 v1, v1
	v_or_b32_e32 v0, v11, v0
	v_lshl_or_b32 v8, v3, 12, v2
	v_cmp_gt_i32_e32 vcc, 1, v3
	v_cndmask_b32_e32 v0, v8, v0, vcc
	v_and_b32_e32 v8, 7, v0
	v_cmp_lt_i32_e32 vcc, 5, v8
	v_cmp_eq_u32_e64 s[0:1], 3, v8
	v_lshrrev_b32_e32 v8, 2, v0
	v_cvt_f64_f32_e32 v[0:1], v1
	s_or_b64 vcc, s[0:1], vcc
	v_addc_co_u32_e32 v8, vcc, 0, v8, vcc
	v_mul_f64 v[0:1], v[0:1], s[14:15]
	v_cmp_gt_i32_e32 vcc, 31, v3
	v_cndmask_b32_e32 v8, v4, v8, vcc
	v_cmp_ne_u32_e32 vcc, 0, v2
	v_cndmask_b32_e64 v2, 0, 1, vcc
	v_lshl_or_b32 v2, v2, 9, v4
	v_cmp_eq_u32_e32 vcc, s16, v3
	v_cndmask_b32_e32 v2, v8, v2, vcc
	v_and_or_b32 v0, v1, s18, v0
	v_lshrrev_b32_e32 v3, 16, v9
	v_cmp_ne_u32_e32 vcc, 0, v0
	v_and_or_b32 v8, v3, s10, v2
	v_cndmask_b32_e64 v0, 0, 1, vcc
	v_lshrrev_b32_e32 v2, 8, v1
	v_bfe_u32 v3, v1, 20, 11
	v_and_or_b32 v0, v2, s17, v0
	v_sub_u32_e32 v9, 0x3f1, v3
	v_or_b32_e32 v2, 0x1000, v0
	v_med3_i32 v9, v9, 0, 13
	v_lshrrev_b32_e32 v10, v9, v2
	v_lshlrev_b32_e32 v9, v9, v10
	v_cmp_ne_u32_e32 vcc, v9, v2
	v_cndmask_b32_e64 v2, 0, 1, vcc
	v_add_u32_e32 v9, 0xfffffc10, v3
	v_or_b32_e32 v2, v10, v2
	v_lshl_or_b32 v3, v9, 12, v0
	v_cmp_gt_i32_e32 vcc, 1, v9
	v_cndmask_b32_e32 v2, v3, v2, vcc
	v_and_b32_e32 v3, 7, v2
	v_cmp_lt_i32_e32 vcc, 5, v3
	v_cmp_eq_u32_e64 s[0:1], 3, v3
	v_lshrrev_b32_e32 v2, 2, v2
	s_or_b64 vcc, s[0:1], vcc
	v_addc_co_u32_e32 v2, vcc, 0, v2, vcc
	v_or_b32_e32 v5, 0x120, v26
	v_cmp_gt_i32_e32 vcc, 31, v9
	v_cndmask_b32_e32 v10, v4, v2, vcc
	v_mad_u64_u32 v[2:3], s[0:1], s8, v5, 0
	v_cmp_ne_u32_e32 vcc, 0, v0
	v_cndmask_b32_e64 v0, 0, 1, vcc
	v_lshl_or_b32 v11, v0, 9, v4
	v_mov_b32_e32 v0, v3
	v_mad_u64_u32 v[3:4], s[0:1], s9, v5, v[0:1]
	v_cmp_eq_u32_e32 vcc, s16, v9
	v_cndmask_b32_e32 v0, v10, v11, vcc
	v_lshrrev_b32_e32 v1, 16, v1
	v_and_or_b32 v0, v1, s10, v0
	v_and_b32_e32 v1, 0xffff, v8
	v_lshl_or_b32 v4, v0, 16, v1
	v_lshlrev_b64 v[0:1], 2, v[2:3]
	v_add_co_u32_e32 v0, vcc, v6, v0
	v_addc_co_u32_e32 v1, vcc, v7, v1, vcc
	global_store_dword v[0:1], v4, off
.LBB0_15:
	s_endpgm
	.section	.rodata,"a",@progbits
	.p2align	6, 0x0
	.amdhsa_kernel bluestein_single_fwd_len312_dim1_half_op_CI_CI
		.amdhsa_group_segment_fixed_size 2496
		.amdhsa_private_segment_fixed_size 0
		.amdhsa_kernarg_size 104
		.amdhsa_user_sgpr_count 6
		.amdhsa_user_sgpr_private_segment_buffer 1
		.amdhsa_user_sgpr_dispatch_ptr 0
		.amdhsa_user_sgpr_queue_ptr 0
		.amdhsa_user_sgpr_kernarg_segment_ptr 1
		.amdhsa_user_sgpr_dispatch_id 0
		.amdhsa_user_sgpr_flat_scratch_init 0
		.amdhsa_user_sgpr_private_segment_size 0
		.amdhsa_uses_dynamic_stack 0
		.amdhsa_system_sgpr_private_segment_wavefront_offset 0
		.amdhsa_system_sgpr_workgroup_id_x 1
		.amdhsa_system_sgpr_workgroup_id_y 0
		.amdhsa_system_sgpr_workgroup_id_z 0
		.amdhsa_system_sgpr_workgroup_info 0
		.amdhsa_system_vgpr_workitem_id 0
		.amdhsa_next_free_vgpr 154
		.amdhsa_next_free_sgpr 28
		.amdhsa_reserve_vcc 1
		.amdhsa_reserve_flat_scratch 0
		.amdhsa_float_round_mode_32 0
		.amdhsa_float_round_mode_16_64 0
		.amdhsa_float_denorm_mode_32 3
		.amdhsa_float_denorm_mode_16_64 3
		.amdhsa_dx10_clamp 1
		.amdhsa_ieee_mode 1
		.amdhsa_fp16_overflow 0
		.amdhsa_exception_fp_ieee_invalid_op 0
		.amdhsa_exception_fp_denorm_src 0
		.amdhsa_exception_fp_ieee_div_zero 0
		.amdhsa_exception_fp_ieee_overflow 0
		.amdhsa_exception_fp_ieee_underflow 0
		.amdhsa_exception_fp_ieee_inexact 0
		.amdhsa_exception_int_div_zero 0
	.end_amdhsa_kernel
	.text
.Lfunc_end0:
	.size	bluestein_single_fwd_len312_dim1_half_op_CI_CI, .Lfunc_end0-bluestein_single_fwd_len312_dim1_half_op_CI_CI
                                        ; -- End function
	.section	.AMDGPU.csdata,"",@progbits
; Kernel info:
; codeLenInByte = 20176
; NumSgprs: 32
; NumVgprs: 154
; ScratchSize: 0
; MemoryBound: 0
; FloatMode: 240
; IeeeMode: 1
; LDSByteSize: 2496 bytes/workgroup (compile time only)
; SGPRBlocks: 3
; VGPRBlocks: 38
; NumSGPRsForWavesPerEU: 32
; NumVGPRsForWavesPerEU: 154
; Occupancy: 1
; WaveLimiterHint : 1
; COMPUTE_PGM_RSRC2:SCRATCH_EN: 0
; COMPUTE_PGM_RSRC2:USER_SGPR: 6
; COMPUTE_PGM_RSRC2:TRAP_HANDLER: 0
; COMPUTE_PGM_RSRC2:TGID_X_EN: 1
; COMPUTE_PGM_RSRC2:TGID_Y_EN: 0
; COMPUTE_PGM_RSRC2:TGID_Z_EN: 0
; COMPUTE_PGM_RSRC2:TIDIG_COMP_CNT: 0
	.type	__hip_cuid_ace3a3e60a6841c2,@object ; @__hip_cuid_ace3a3e60a6841c2
	.section	.bss,"aw",@nobits
	.globl	__hip_cuid_ace3a3e60a6841c2
__hip_cuid_ace3a3e60a6841c2:
	.byte	0                               ; 0x0
	.size	__hip_cuid_ace3a3e60a6841c2, 1

	.ident	"AMD clang version 19.0.0git (https://github.com/RadeonOpenCompute/llvm-project roc-6.4.0 25133 c7fe45cf4b819c5991fe208aaa96edf142730f1d)"
	.section	".note.GNU-stack","",@progbits
	.addrsig
	.addrsig_sym __hip_cuid_ace3a3e60a6841c2
	.amdgpu_metadata
---
amdhsa.kernels:
  - .args:
      - .actual_access:  read_only
        .address_space:  global
        .offset:         0
        .size:           8
        .value_kind:     global_buffer
      - .actual_access:  read_only
        .address_space:  global
        .offset:         8
        .size:           8
        .value_kind:     global_buffer
      - .actual_access:  read_only
        .address_space:  global
        .offset:         16
        .size:           8
        .value_kind:     global_buffer
      - .actual_access:  read_only
        .address_space:  global
        .offset:         24
        .size:           8
        .value_kind:     global_buffer
      - .actual_access:  read_only
        .address_space:  global
        .offset:         32
        .size:           8
        .value_kind:     global_buffer
      - .offset:         40
        .size:           8
        .value_kind:     by_value
      - .address_space:  global
        .offset:         48
        .size:           8
        .value_kind:     global_buffer
      - .address_space:  global
        .offset:         56
        .size:           8
        .value_kind:     global_buffer
      - .address_space:  global
        .offset:         64
        .size:           8
        .value_kind:     global_buffer
      - .address_space:  global
        .offset:         72
        .size:           8
        .value_kind:     global_buffer
      - .offset:         80
        .size:           4
        .value_kind:     by_value
      - .address_space:  global
        .offset:         88
        .size:           8
        .value_kind:     global_buffer
      - .address_space:  global
        .offset:         96
        .size:           8
        .value_kind:     global_buffer
    .group_segment_fixed_size: 2496
    .kernarg_segment_align: 8
    .kernarg_segment_size: 104
    .language:       OpenCL C
    .language_version:
      - 2
      - 0
    .max_flat_workgroup_size: 52
    .name:           bluestein_single_fwd_len312_dim1_half_op_CI_CI
    .private_segment_fixed_size: 0
    .sgpr_count:     32
    .sgpr_spill_count: 0
    .symbol:         bluestein_single_fwd_len312_dim1_half_op_CI_CI.kd
    .uniform_work_group_size: 1
    .uses_dynamic_stack: false
    .vgpr_count:     154
    .vgpr_spill_count: 0
    .wavefront_size: 64
amdhsa.target:   amdgcn-amd-amdhsa--gfx906
amdhsa.version:
  - 1
  - 2
...

	.end_amdgpu_metadata
